;; amdgpu-corpus repo=ROCm/rocFFT kind=compiled arch=gfx1201 opt=O3
	.text
	.amdgcn_target "amdgcn-amd-amdhsa--gfx1201"
	.amdhsa_code_object_version 6
	.protected	fft_rtc_back_len1820_factors_10_13_7_2_wgs_182_tpt_182_halfLds_sp_op_CI_CI_unitstride_sbrr_R2C_dirReg ; -- Begin function fft_rtc_back_len1820_factors_10_13_7_2_wgs_182_tpt_182_halfLds_sp_op_CI_CI_unitstride_sbrr_R2C_dirReg
	.globl	fft_rtc_back_len1820_factors_10_13_7_2_wgs_182_tpt_182_halfLds_sp_op_CI_CI_unitstride_sbrr_R2C_dirReg
	.p2align	8
	.type	fft_rtc_back_len1820_factors_10_13_7_2_wgs_182_tpt_182_halfLds_sp_op_CI_CI_unitstride_sbrr_R2C_dirReg,@function
fft_rtc_back_len1820_factors_10_13_7_2_wgs_182_tpt_182_halfLds_sp_op_CI_CI_unitstride_sbrr_R2C_dirReg: ; @fft_rtc_back_len1820_factors_10_13_7_2_wgs_182_tpt_182_halfLds_sp_op_CI_CI_unitstride_sbrr_R2C_dirReg
; %bb.0:
	s_clause 0x2
	s_load_b128 s[8:11], s[0:1], 0x0
	s_load_b128 s[4:7], s[0:1], 0x58
	;; [unrolled: 1-line block ×3, first 2 shown]
	v_mul_u32_u24_e32 v1, 0x169, v0
	v_mov_b32_e32 v3, 0
	s_delay_alu instid0(VALU_DEP_2) | instskip(NEXT) | instid1(VALU_DEP_1)
	v_lshrrev_b32_e32 v1, 16, v1
	v_add_nc_u32_e32 v5, ttmp9, v1
	v_mov_b32_e32 v1, 0
	v_mov_b32_e32 v2, 0
	;; [unrolled: 1-line block ×3, first 2 shown]
	s_wait_kmcnt 0x0
	v_cmp_lt_u64_e64 s2, s[10:11], 2
	s_delay_alu instid0(VALU_DEP_1)
	s_and_b32 vcc_lo, exec_lo, s2
	s_cbranch_vccnz .LBB0_8
; %bb.1:
	s_load_b64 s[2:3], s[0:1], 0x10
	v_mov_b32_e32 v1, 0
	v_mov_b32_e32 v2, 0
	s_add_nc_u64 s[16:17], s[14:15], 8
	s_add_nc_u64 s[18:19], s[12:13], 8
	s_mov_b64 s[20:21], 1
	s_delay_alu instid0(VALU_DEP_1)
	v_dual_mov_b32 v25, v2 :: v_dual_mov_b32 v24, v1
	s_wait_kmcnt 0x0
	s_add_nc_u64 s[22:23], s[2:3], 8
	s_mov_b32 s3, 0
.LBB0_2:                                ; =>This Inner Loop Header: Depth=1
	s_load_b64 s[24:25], s[22:23], 0x0
                                        ; implicit-def: $vgpr28_vgpr29
	s_mov_b32 s2, exec_lo
	s_wait_kmcnt 0x0
	v_or_b32_e32 v4, s25, v6
	s_delay_alu instid0(VALU_DEP_1)
	v_cmpx_ne_u64_e32 0, v[3:4]
	s_wait_alu 0xfffe
	s_xor_b32 s26, exec_lo, s2
	s_cbranch_execz .LBB0_4
; %bb.3:                                ;   in Loop: Header=BB0_2 Depth=1
	s_cvt_f32_u32 s2, s24
	s_cvt_f32_u32 s27, s25
	s_sub_nc_u64 s[30:31], 0, s[24:25]
	s_wait_alu 0xfffe
	s_delay_alu instid0(SALU_CYCLE_1) | instskip(SKIP_1) | instid1(SALU_CYCLE_2)
	s_fmamk_f32 s2, s27, 0x4f800000, s2
	s_wait_alu 0xfffe
	v_s_rcp_f32 s2, s2
	s_delay_alu instid0(TRANS32_DEP_1) | instskip(SKIP_1) | instid1(SALU_CYCLE_2)
	s_mul_f32 s2, s2, 0x5f7ffffc
	s_wait_alu 0xfffe
	s_mul_f32 s27, s2, 0x2f800000
	s_wait_alu 0xfffe
	s_delay_alu instid0(SALU_CYCLE_2) | instskip(SKIP_1) | instid1(SALU_CYCLE_2)
	s_trunc_f32 s27, s27
	s_wait_alu 0xfffe
	s_fmamk_f32 s2, s27, 0xcf800000, s2
	s_cvt_u32_f32 s29, s27
	s_wait_alu 0xfffe
	s_delay_alu instid0(SALU_CYCLE_1) | instskip(SKIP_1) | instid1(SALU_CYCLE_2)
	s_cvt_u32_f32 s28, s2
	s_wait_alu 0xfffe
	s_mul_u64 s[34:35], s[30:31], s[28:29]
	s_wait_alu 0xfffe
	s_mul_hi_u32 s37, s28, s35
	s_mul_i32 s36, s28, s35
	s_mul_hi_u32 s2, s28, s34
	s_mul_i32 s33, s29, s34
	s_wait_alu 0xfffe
	s_add_nc_u64 s[36:37], s[2:3], s[36:37]
	s_mul_hi_u32 s27, s29, s34
	s_mul_hi_u32 s38, s29, s35
	s_add_co_u32 s2, s36, s33
	s_wait_alu 0xfffe
	s_add_co_ci_u32 s2, s37, s27
	s_mul_i32 s34, s29, s35
	s_add_co_ci_u32 s35, s38, 0
	s_wait_alu 0xfffe
	s_add_nc_u64 s[34:35], s[2:3], s[34:35]
	s_wait_alu 0xfffe
	v_add_co_u32 v4, s2, s28, s34
	s_delay_alu instid0(VALU_DEP_1) | instskip(SKIP_1) | instid1(VALU_DEP_1)
	s_cmp_lg_u32 s2, 0
	s_add_co_ci_u32 s29, s29, s35
	v_readfirstlane_b32 s28, v4
	s_wait_alu 0xfffe
	s_delay_alu instid0(VALU_DEP_1)
	s_mul_u64 s[30:31], s[30:31], s[28:29]
	s_wait_alu 0xfffe
	s_mul_hi_u32 s35, s28, s31
	s_mul_i32 s34, s28, s31
	s_mul_hi_u32 s2, s28, s30
	s_mul_i32 s33, s29, s30
	s_wait_alu 0xfffe
	s_add_nc_u64 s[34:35], s[2:3], s[34:35]
	s_mul_hi_u32 s27, s29, s30
	s_mul_hi_u32 s28, s29, s31
	s_wait_alu 0xfffe
	s_add_co_u32 s2, s34, s33
	s_add_co_ci_u32 s2, s35, s27
	s_mul_i32 s30, s29, s31
	s_add_co_ci_u32 s31, s28, 0
	s_wait_alu 0xfffe
	s_add_nc_u64 s[30:31], s[2:3], s[30:31]
	s_wait_alu 0xfffe
	v_add_co_u32 v4, s2, v4, s30
	s_delay_alu instid0(VALU_DEP_1) | instskip(SKIP_1) | instid1(VALU_DEP_1)
	s_cmp_lg_u32 s2, 0
	s_add_co_ci_u32 s2, s29, s31
	v_mul_hi_u32 v13, v5, v4
	s_wait_alu 0xfffe
	v_mad_co_u64_u32 v[7:8], null, v5, s2, 0
	v_mad_co_u64_u32 v[9:10], null, v6, v4, 0
	;; [unrolled: 1-line block ×3, first 2 shown]
	s_delay_alu instid0(VALU_DEP_3) | instskip(SKIP_1) | instid1(VALU_DEP_4)
	v_add_co_u32 v4, vcc_lo, v13, v7
	s_wait_alu 0xfffd
	v_add_co_ci_u32_e32 v7, vcc_lo, 0, v8, vcc_lo
	s_delay_alu instid0(VALU_DEP_2) | instskip(SKIP_1) | instid1(VALU_DEP_2)
	v_add_co_u32 v4, vcc_lo, v4, v9
	s_wait_alu 0xfffd
	v_add_co_ci_u32_e32 v4, vcc_lo, v7, v10, vcc_lo
	s_wait_alu 0xfffd
	v_add_co_ci_u32_e32 v7, vcc_lo, 0, v12, vcc_lo
	s_delay_alu instid0(VALU_DEP_2) | instskip(SKIP_1) | instid1(VALU_DEP_2)
	v_add_co_u32 v4, vcc_lo, v4, v11
	s_wait_alu 0xfffd
	v_add_co_ci_u32_e32 v9, vcc_lo, 0, v7, vcc_lo
	s_delay_alu instid0(VALU_DEP_2) | instskip(SKIP_1) | instid1(VALU_DEP_3)
	v_mul_lo_u32 v10, s25, v4
	v_mad_co_u64_u32 v[7:8], null, s24, v4, 0
	v_mul_lo_u32 v11, s24, v9
	s_delay_alu instid0(VALU_DEP_2) | instskip(NEXT) | instid1(VALU_DEP_2)
	v_sub_co_u32 v7, vcc_lo, v5, v7
	v_add3_u32 v8, v8, v11, v10
	s_delay_alu instid0(VALU_DEP_1) | instskip(SKIP_1) | instid1(VALU_DEP_1)
	v_sub_nc_u32_e32 v10, v6, v8
	s_wait_alu 0xfffd
	v_subrev_co_ci_u32_e64 v10, s2, s25, v10, vcc_lo
	v_add_co_u32 v11, s2, v4, 2
	s_wait_alu 0xf1ff
	v_add_co_ci_u32_e64 v12, s2, 0, v9, s2
	v_sub_co_u32 v13, s2, v7, s24
	v_sub_co_ci_u32_e32 v8, vcc_lo, v6, v8, vcc_lo
	s_wait_alu 0xf1ff
	v_subrev_co_ci_u32_e64 v10, s2, 0, v10, s2
	s_delay_alu instid0(VALU_DEP_3) | instskip(NEXT) | instid1(VALU_DEP_3)
	v_cmp_le_u32_e32 vcc_lo, s24, v13
	v_cmp_eq_u32_e64 s2, s25, v8
	s_wait_alu 0xfffd
	v_cndmask_b32_e64 v13, 0, -1, vcc_lo
	v_cmp_le_u32_e32 vcc_lo, s25, v10
	s_wait_alu 0xfffd
	v_cndmask_b32_e64 v14, 0, -1, vcc_lo
	v_cmp_le_u32_e32 vcc_lo, s24, v7
	;; [unrolled: 3-line block ×3, first 2 shown]
	s_wait_alu 0xfffd
	v_cndmask_b32_e64 v15, 0, -1, vcc_lo
	v_cmp_eq_u32_e32 vcc_lo, s25, v10
	s_wait_alu 0xf1ff
	s_delay_alu instid0(VALU_DEP_2)
	v_cndmask_b32_e64 v7, v15, v7, s2
	s_wait_alu 0xfffd
	v_cndmask_b32_e32 v10, v14, v13, vcc_lo
	v_add_co_u32 v13, vcc_lo, v4, 1
	s_wait_alu 0xfffd
	v_add_co_ci_u32_e32 v14, vcc_lo, 0, v9, vcc_lo
	s_delay_alu instid0(VALU_DEP_3) | instskip(SKIP_1) | instid1(VALU_DEP_2)
	v_cmp_ne_u32_e32 vcc_lo, 0, v10
	s_wait_alu 0xfffd
	v_cndmask_b32_e32 v8, v14, v12, vcc_lo
	v_cndmask_b32_e32 v10, v13, v11, vcc_lo
	v_cmp_ne_u32_e32 vcc_lo, 0, v7
	s_wait_alu 0xfffd
	s_delay_alu instid0(VALU_DEP_2)
	v_dual_cndmask_b32 v29, v9, v8 :: v_dual_cndmask_b32 v28, v4, v10
.LBB0_4:                                ;   in Loop: Header=BB0_2 Depth=1
	s_wait_alu 0xfffe
	s_and_not1_saveexec_b32 s2, s26
	s_cbranch_execz .LBB0_6
; %bb.5:                                ;   in Loop: Header=BB0_2 Depth=1
	v_cvt_f32_u32_e32 v4, s24
	s_sub_co_i32 s26, 0, s24
	v_mov_b32_e32 v29, v3
	s_delay_alu instid0(VALU_DEP_2) | instskip(NEXT) | instid1(TRANS32_DEP_1)
	v_rcp_iflag_f32_e32 v4, v4
	v_mul_f32_e32 v4, 0x4f7ffffe, v4
	s_delay_alu instid0(VALU_DEP_1) | instskip(SKIP_1) | instid1(VALU_DEP_1)
	v_cvt_u32_f32_e32 v4, v4
	s_wait_alu 0xfffe
	v_mul_lo_u32 v7, s26, v4
	s_delay_alu instid0(VALU_DEP_1) | instskip(NEXT) | instid1(VALU_DEP_1)
	v_mul_hi_u32 v7, v4, v7
	v_add_nc_u32_e32 v4, v4, v7
	s_delay_alu instid0(VALU_DEP_1) | instskip(NEXT) | instid1(VALU_DEP_1)
	v_mul_hi_u32 v4, v5, v4
	v_mul_lo_u32 v7, v4, s24
	v_add_nc_u32_e32 v8, 1, v4
	s_delay_alu instid0(VALU_DEP_2) | instskip(NEXT) | instid1(VALU_DEP_1)
	v_sub_nc_u32_e32 v7, v5, v7
	v_subrev_nc_u32_e32 v9, s24, v7
	v_cmp_le_u32_e32 vcc_lo, s24, v7
	s_wait_alu 0xfffd
	s_delay_alu instid0(VALU_DEP_2) | instskip(NEXT) | instid1(VALU_DEP_1)
	v_dual_cndmask_b32 v7, v7, v9 :: v_dual_cndmask_b32 v4, v4, v8
	v_cmp_le_u32_e32 vcc_lo, s24, v7
	s_delay_alu instid0(VALU_DEP_2) | instskip(SKIP_1) | instid1(VALU_DEP_1)
	v_add_nc_u32_e32 v8, 1, v4
	s_wait_alu 0xfffd
	v_cndmask_b32_e32 v28, v4, v8, vcc_lo
.LBB0_6:                                ;   in Loop: Header=BB0_2 Depth=1
	s_wait_alu 0xfffe
	s_or_b32 exec_lo, exec_lo, s2
	v_mul_lo_u32 v4, v29, s24
	s_delay_alu instid0(VALU_DEP_2)
	v_mul_lo_u32 v9, v28, s25
	s_load_b64 s[26:27], s[18:19], 0x0
	v_mad_co_u64_u32 v[7:8], null, v28, s24, 0
	s_load_b64 s[24:25], s[16:17], 0x0
	s_add_nc_u64 s[20:21], s[20:21], 1
	s_add_nc_u64 s[16:17], s[16:17], 8
	s_wait_alu 0xfffe
	v_cmp_ge_u64_e64 s2, s[20:21], s[10:11]
	s_add_nc_u64 s[18:19], s[18:19], 8
	s_add_nc_u64 s[22:23], s[22:23], 8
	v_add3_u32 v4, v8, v9, v4
	v_sub_co_u32 v5, vcc_lo, v5, v7
	s_wait_alu 0xfffd
	s_delay_alu instid0(VALU_DEP_2) | instskip(SKIP_2) | instid1(VALU_DEP_1)
	v_sub_co_ci_u32_e32 v4, vcc_lo, v6, v4, vcc_lo
	s_and_b32 vcc_lo, exec_lo, s2
	s_wait_kmcnt 0x0
	v_mul_lo_u32 v6, s26, v4
	v_mul_lo_u32 v7, s27, v5
	v_mad_co_u64_u32 v[1:2], null, s26, v5, v[1:2]
	v_mul_lo_u32 v4, s24, v4
	v_mul_lo_u32 v8, s25, v5
	v_mad_co_u64_u32 v[24:25], null, s24, v5, v[24:25]
	s_delay_alu instid0(VALU_DEP_4) | instskip(NEXT) | instid1(VALU_DEP_2)
	v_add3_u32 v2, v7, v2, v6
	v_add3_u32 v25, v8, v25, v4
	s_wait_alu 0xfffe
	s_cbranch_vccnz .LBB0_9
; %bb.7:                                ;   in Loop: Header=BB0_2 Depth=1
	v_dual_mov_b32 v5, v28 :: v_dual_mov_b32 v6, v29
	s_branch .LBB0_2
.LBB0_8:
	v_dual_mov_b32 v25, v2 :: v_dual_mov_b32 v24, v1
	v_dual_mov_b32 v29, v6 :: v_dual_mov_b32 v28, v5
.LBB0_9:
	s_load_b64 s[0:1], s[0:1], 0x28
	v_mul_hi_u32 v3, 0x1681682, v0
	s_lshl_b64 s[10:11], s[10:11], 3
                                        ; implicit-def: $vgpr26
	s_wait_kmcnt 0x0
	v_cmp_gt_u64_e32 vcc_lo, s[0:1], v[28:29]
	v_cmp_le_u64_e64 s0, s[0:1], v[28:29]
	s_delay_alu instid0(VALU_DEP_1)
	s_and_saveexec_b32 s1, s0
	s_wait_alu 0xfffe
	s_xor_b32 s0, exec_lo, s1
; %bb.10:
	v_mul_u32_u24_e32 v1, 0xb6, v3
                                        ; implicit-def: $vgpr3
	s_delay_alu instid0(VALU_DEP_1)
	v_sub_nc_u32_e32 v26, v0, v1
                                        ; implicit-def: $vgpr0
                                        ; implicit-def: $vgpr1_vgpr2
; %bb.11:
	s_wait_alu 0xfffe
	s_or_saveexec_b32 s1, s0
	s_add_nc_u64 s[2:3], s[14:15], s[10:11]
	s_wait_alu 0xfffe
	s_xor_b32 exec_lo, exec_lo, s1
	s_cbranch_execz .LBB0_13
; %bb.12:
	s_add_nc_u64 s[10:11], s[12:13], s[10:11]
	v_lshlrev_b64_e32 v[1:2], 3, v[1:2]
	s_load_b64 s[10:11], s[10:11], 0x0
	s_wait_kmcnt 0x0
	v_mul_lo_u32 v6, s11, v28
	v_mul_lo_u32 v7, s10, v29
	v_mad_co_u64_u32 v[4:5], null, s10, v28, 0
	s_delay_alu instid0(VALU_DEP_1) | instskip(SKIP_1) | instid1(VALU_DEP_2)
	v_add3_u32 v5, v5, v7, v6
	v_mul_u32_u24_e32 v6, 0xb6, v3
	v_lshlrev_b64_e32 v[3:4], 3, v[4:5]
	s_delay_alu instid0(VALU_DEP_2) | instskip(NEXT) | instid1(VALU_DEP_1)
	v_sub_nc_u32_e32 v26, v0, v6
	v_lshlrev_b32_e32 v20, 3, v26
	s_delay_alu instid0(VALU_DEP_3) | instskip(SKIP_1) | instid1(VALU_DEP_4)
	v_add_co_u32 v0, s0, s4, v3
	s_wait_alu 0xf1ff
	v_add_co_ci_u32_e64 v3, s0, s5, v4, s0
	s_delay_alu instid0(VALU_DEP_2) | instskip(SKIP_1) | instid1(VALU_DEP_2)
	v_add_co_u32 v0, s0, v0, v1
	s_wait_alu 0xf1ff
	v_add_co_ci_u32_e64 v1, s0, v3, v2, s0
	s_delay_alu instid0(VALU_DEP_2) | instskip(SKIP_1) | instid1(VALU_DEP_2)
	v_add_co_u32 v0, s0, v0, v20
	s_wait_alu 0xf1ff
	v_add_co_ci_u32_e64 v1, s0, 0, v1, s0
	s_clause 0x9
	global_load_b64 v[2:3], v[0:1], off
	global_load_b64 v[4:5], v[0:1], off offset:1456
	global_load_b64 v[6:7], v[0:1], off offset:2912
	;; [unrolled: 1-line block ×9, first 2 shown]
	v_add_nc_u32_e32 v20, 0, v20
	s_delay_alu instid0(VALU_DEP_1)
	v_add_nc_u32_e32 v21, 0xa00, v20
	v_add_nc_u32_e32 v22, 0x1600, v20
	;; [unrolled: 1-line block ×4, first 2 shown]
	s_wait_loadcnt 0x8
	ds_store_2addr_b64 v20, v[2:3], v[4:5] offset1:182
	s_wait_loadcnt 0x6
	ds_store_2addr_b64 v21, v[6:7], v[8:9] offset0:44 offset1:226
	s_wait_loadcnt 0x4
	ds_store_2addr_b64 v22, v[10:11], v[12:13] offset0:24 offset1:206
	;; [unrolled: 2-line block ×4, first 2 shown]
.LBB0_13:
	s_or_b32 exec_lo, exec_lo, s1
	v_lshl_add_u32 v36, v26, 3, 0
	s_load_b64 s[2:3], s[2:3], 0x0
	global_wb scope:SCOPE_SE
	s_wait_dscnt 0x0
	s_wait_kmcnt 0x0
	s_barrier_signal -1
	s_barrier_wait -1
	v_add_nc_u32_e32 v4, 0xa00, v36
	v_add_nc_u32_e32 v8, 0x1600, v36
	;; [unrolled: 1-line block ×4, first 2 shown]
	global_inv scope:SCOPE_SE
	ds_load_2addr_b64 v[0:3], v36 offset1:182
	ds_load_2addr_b64 v[4:7], v4 offset0:44 offset1:226
	ds_load_2addr_b64 v[8:11], v8 offset0:24 offset1:206
	;; [unrolled: 1-line block ×4, first 2 shown]
	v_cmp_gt_u32_e64 s0, 0x8c, v26
	global_wb scope:SCOPE_SE
	s_wait_dscnt 0x0
	s_barrier_signal -1
	s_barrier_wait -1
	global_inv scope:SCOPE_SE
	v_dual_add_f32 v35, v1, v5 :: v_dual_sub_f32 v30, v4, v8
	v_dual_add_f32 v22, v8, v12 :: v_dual_add_f32 v39, v5, v17
	v_sub_f32_e32 v23, v5, v17
	v_sub_f32_e32 v27, v9, v13
	;; [unrolled: 1-line block ×5, first 2 shown]
	v_add_f32_e32 v21, v0, v4
	v_dual_sub_f32 v38, v8, v12 :: v_dual_add_f32 v37, v9, v13
	s_delay_alu instid0(VALU_DEP_2) | instskip(SKIP_3) | instid1(VALU_DEP_4)
	v_add_f32_e32 v8, v21, v8
	v_fma_f32 v21, -0.5, v22, v0
	v_add_f32_e32 v32, v4, v16
	v_dual_add_f32 v22, v30, v31 :: v_dual_add_f32 v31, v35, v9
	v_add_f32_e32 v8, v8, v12
	s_delay_alu instid0(VALU_DEP_4)
	v_fmamk_f32 v12, v23, 0xbf737871, v21
	v_fmac_f32_e32 v21, 0x3f737871, v23
	v_fma_f32 v30, -0.5, v32, v0
	v_dual_sub_f32 v4, v4, v16 :: v_dual_add_f32 v31, v31, v13
	v_add_f32_e32 v0, v33, v34
	v_fma_f32 v32, -0.5, v37, v1
	s_delay_alu instid0(VALU_DEP_4)
	v_fmamk_f32 v33, v27, 0x3f737871, v30
	v_fmac_f32_e32 v30, 0xbf737871, v27
	v_fmac_f32_e32 v12, 0xbf167918, v27
	;; [unrolled: 1-line block ×3, first 2 shown]
	v_fmamk_f32 v34, v4, 0x3f737871, v32
	v_fmac_f32_e32 v33, 0xbf167918, v23
	v_dual_add_f32 v27, v31, v17 :: v_dual_fmac_f32 v30, 0x3f167918, v23
	s_delay_alu instid0(VALU_DEP_4)
	v_fmac_f32_e32 v21, 0x3e9e377a, v22
	v_fma_f32 v23, -0.5, v39, v1
	v_dual_sub_f32 v1, v9, v5 :: v_dual_add_f32 v16, v8, v16
	v_sub_f32_e32 v8, v5, v9
	v_dual_sub_f32 v5, v13, v17 :: v_dual_fmac_f32 v12, 0x3e9e377a, v22
	v_dual_fmac_f32 v33, 0x3e9e377a, v0 :: v_dual_sub_f32 v22, v17, v13
	s_delay_alu instid0(VALU_DEP_2) | instskip(SKIP_1) | instid1(VALU_DEP_3)
	v_dual_fmac_f32 v32, 0xbf737871, v4 :: v_dual_add_f32 v1, v1, v5
	v_dual_fmac_f32 v30, 0x3e9e377a, v0 :: v_dual_sub_f32 v35, v14, v18
	v_add_f32_e32 v0, v8, v22
	v_fmamk_f32 v22, v38, 0xbf737871, v23
	v_fmac_f32_e32 v23, 0x3f737871, v38
	v_fmac_f32_e32 v34, 0x3f167918, v38
	;; [unrolled: 1-line block ×3, first 2 shown]
	s_delay_alu instid0(VALU_DEP_4) | instskip(NEXT) | instid1(VALU_DEP_4)
	v_dual_sub_f32 v31, v10, v6 :: v_dual_fmac_f32 v22, 0x3f167918, v4
	v_dual_fmac_f32 v23, 0xbf167918, v4 :: v_dual_add_f32 v4, v6, v18
	s_delay_alu instid0(VALU_DEP_4) | instskip(NEXT) | instid1(VALU_DEP_4)
	v_fmac_f32_e32 v34, 0x3e9e377a, v0
	v_fmac_f32_e32 v32, 0x3e9e377a, v0
	s_delay_alu instid0(VALU_DEP_4) | instskip(NEXT) | instid1(VALU_DEP_4)
	v_fmac_f32_e32 v22, 0x3e9e377a, v1
	v_fmac_f32_e32 v23, 0x3e9e377a, v1
	v_fma_f32 v1, -0.5, v4, v2
	v_add_f32_e32 v8, v2, v6
	v_sub_f32_e32 v4, v18, v14
	s_delay_alu instid0(VALU_DEP_2) | instskip(NEXT) | instid1(VALU_DEP_1)
	v_add_f32_e32 v5, v8, v10
	v_add_f32_e32 v0, v5, v14
	s_delay_alu instid0(VALU_DEP_1) | instskip(NEXT) | instid1(VALU_DEP_1)
	v_dual_add_f32 v13, v0, v18 :: v_dual_sub_f32 v0, v11, v15
	v_dual_add_f32 v8, v10, v14 :: v_dual_fmamk_f32 v17, v0, 0x3f737871, v1
	v_fmac_f32_e32 v1, 0xbf737871, v0
	s_delay_alu instid0(VALU_DEP_2) | instskip(SKIP_2) | instid1(VALU_DEP_2)
	v_fma_f32 v5, -0.5, v8, v2
	v_sub_f32_e32 v2, v6, v10
	v_sub_f32_e32 v10, v10, v14
	v_add_f32_e32 v2, v2, v4
	v_add_f32_e32 v4, v31, v35
	v_sub_f32_e32 v8, v7, v19
	v_sub_f32_e32 v31, v15, v19
	s_delay_alu instid0(VALU_DEP_2) | instskip(NEXT) | instid1(VALU_DEP_1)
	v_fmac_f32_e32 v17, 0xbf167918, v8
	v_fmac_f32_e32 v17, 0x3e9e377a, v4
	v_fmamk_f32 v9, v8, 0xbf737871, v5
	v_fmac_f32_e32 v5, 0x3f737871, v8
	v_fmac_f32_e32 v1, 0x3f167918, v8
	s_delay_alu instid0(VALU_DEP_3) | instskip(NEXT) | instid1(VALU_DEP_3)
	v_fmac_f32_e32 v9, 0xbf167918, v0
	v_dual_fmac_f32 v5, 0x3f167918, v0 :: v_dual_add_f32 v0, v11, v15
	s_delay_alu instid0(VALU_DEP_2) | instskip(NEXT) | instid1(VALU_DEP_2)
	v_fmac_f32_e32 v9, 0x3e9e377a, v2
	v_fmac_f32_e32 v5, 0x3e9e377a, v2
	s_delay_alu instid0(VALU_DEP_3) | instskip(SKIP_3) | instid1(VALU_DEP_2)
	v_fma_f32 v8, -0.5, v0, v3
	v_sub_f32_e32 v0, v6, v18
	v_add_f32_e32 v2, v7, v19
	v_dual_add_f32 v6, v3, v7 :: v_dual_mul_f32 v37, 0x3f167918, v9
	v_fmac_f32_e32 v3, -0.5, v2
	v_dual_fmac_f32 v1, 0x3e9e377a, v4 :: v_dual_sub_f32 v2, v7, v11
	v_sub_f32_e32 v4, v19, v15
	s_delay_alu instid0(VALU_DEP_3) | instskip(NEXT) | instid1(VALU_DEP_2)
	v_dual_sub_f32 v7, v11, v7 :: v_dual_fmamk_f32 v18, v10, 0xbf737871, v3
	v_dual_fmac_f32 v3, 0x3f737871, v10 :: v_dual_add_f32 v2, v2, v4
	s_delay_alu instid0(VALU_DEP_1) | instskip(NEXT) | instid1(VALU_DEP_1)
	v_dual_add_f32 v4, v7, v31 :: v_dual_fmac_f32 v3, 0xbf167918, v0
	v_fmac_f32_e32 v3, 0x3e9e377a, v4
	s_delay_alu instid0(VALU_DEP_1) | instskip(SKIP_3) | instid1(VALU_DEP_4)
	v_mul_f32_e32 v31, 0xbf737871, v3
	v_fmac_f32_e32 v18, 0x3f167918, v0
	v_mul_f32_e32 v39, 0xbe9e377a, v3
	v_fmamk_f32 v14, v0, 0x3f737871, v8
	v_fmac_f32_e32 v31, 0xbe9e377a, v1
	s_delay_alu instid0(VALU_DEP_4) | instskip(NEXT) | instid1(VALU_DEP_4)
	v_fmac_f32_e32 v18, 0x3e9e377a, v4
	v_fmac_f32_e32 v39, 0x3f737871, v1
	s_delay_alu instid0(VALU_DEP_1) | instskip(NEXT) | instid1(VALU_DEP_1)
	v_dual_mul_f32 v38, 0x3e9e377a, v18 :: v_dual_add_f32 v7, v23, v39
	v_fmac_f32_e32 v38, 0x3f737871, v17
	v_fmac_f32_e32 v8, 0xbf737871, v0
	v_add_f32_e32 v0, v6, v11
	v_add_f32_e32 v6, v30, v31
	s_delay_alu instid0(VALU_DEP_2) | instskip(NEXT) | instid1(VALU_DEP_1)
	v_dual_add_f32 v0, v0, v15 :: v_dual_mul_f32 v15, 0xbf737871, v18
	v_dual_add_f32 v19, v0, v19 :: v_dual_fmac_f32 v14, 0x3f167918, v10
	v_fmac_f32_e32 v8, 0xbf167918, v10
	s_delay_alu instid0(VALU_DEP_3) | instskip(NEXT) | instid1(VALU_DEP_3)
	v_fmac_f32_e32 v15, 0x3e9e377a, v17
	v_dual_sub_f32 v10, v16, v13 :: v_dual_add_f32 v1, v27, v19
	s_delay_alu instid0(VALU_DEP_4) | instskip(SKIP_1) | instid1(VALU_DEP_4)
	v_fmac_f32_e32 v14, 0x3e9e377a, v2
	v_add_f32_e32 v0, v16, v13
	v_sub_f32_e32 v18, v33, v15
	v_sub_f32_e32 v13, v23, v39
                                        ; implicit-def: $vgpr23
	s_delay_alu instid0(VALU_DEP_4) | instskip(SKIP_2) | instid1(VALU_DEP_3)
	v_fmac_f32_e32 v37, 0x3f4f1bbd, v14
	v_fmac_f32_e32 v8, 0x3e9e377a, v2
	v_mul_f32_e32 v11, 0xbf167918, v14
	v_sub_f32_e32 v17, v34, v37
	s_delay_alu instid0(VALU_DEP_3) | instskip(SKIP_1) | instid1(VALU_DEP_4)
	v_mul_f32_e32 v35, 0xbf167918, v8
	v_mul_f32_e32 v40, 0xbf4f1bbd, v8
	v_fmac_f32_e32 v11, 0x3f4f1bbd, v9
	v_add_f32_e32 v3, v34, v37
	s_delay_alu instid0(VALU_DEP_4) | instskip(NEXT) | instid1(VALU_DEP_4)
	v_fmac_f32_e32 v35, 0xbf4f1bbd, v5
	v_fmac_f32_e32 v40, 0x3f167918, v5
	s_delay_alu instid0(VALU_DEP_4) | instskip(SKIP_1) | instid1(VALU_DEP_3)
	v_add_f32_e32 v2, v12, v11
	v_dual_add_f32 v4, v33, v15 :: v_dual_add_f32 v5, v22, v38
	v_dual_add_f32 v8, v21, v35 :: v_dual_sub_f32 v15, v32, v40
	v_add_f32_e32 v9, v32, v40
	v_sub_f32_e32 v16, v12, v11
	v_sub_f32_e32 v12, v30, v31
	;; [unrolled: 1-line block ×5, first 2 shown]
	v_mad_u32_u24 v21, 0x48, v26, v36
	ds_store_2addr_b64 v21, v[0:1], v[2:3] offset1:1
	ds_store_2addr_b64 v21, v[4:5], v[6:7] offset0:2 offset1:3
	ds_store_2addr_b64 v21, v[8:9], v[10:11] offset0:4 offset1:5
	;; [unrolled: 1-line block ×4, first 2 shown]
	global_wb scope:SCOPE_SE
	s_wait_dscnt 0x0
	s_barrier_signal -1
	s_barrier_wait -1
	global_inv scope:SCOPE_SE
                                        ; implicit-def: $vgpr31
	s_and_saveexec_b32 s1, s0
	s_cbranch_execz .LBB0_15
; %bb.14:
	v_add_nc_u32_e32 v4, 0x800, v36
	v_add_nc_u32_e32 v8, 0x1000, v36
	;; [unrolled: 1-line block ×4, first 2 shown]
	ds_load_2addr_b64 v[0:3], v36 offset1:140
	ds_load_2addr_b64 v[4:7], v4 offset0:24 offset1:164
	ds_load_2addr_b64 v[8:11], v8 offset0:48 offset1:188
	;; [unrolled: 1-line block ×5, first 2 shown]
	ds_load_b64 v[30:31], v36 offset:13440
.LBB0_15:
	s_wait_alu 0xfffe
	s_or_b32 exec_lo, exec_lo, s1
	v_and_b32_e32 v27, 0xff, v26
	s_delay_alu instid0(VALU_DEP_1) | instskip(NEXT) | instid1(VALU_DEP_1)
	v_mul_lo_u16 v27, 0xcd, v27
	v_lshrrev_b16 v32, 11, v27
	s_delay_alu instid0(VALU_DEP_1) | instskip(NEXT) | instid1(VALU_DEP_1)
	v_mul_lo_u16 v27, v32, 10
	v_sub_nc_u16 v27, v26, v27
	s_delay_alu instid0(VALU_DEP_1) | instskip(NEXT) | instid1(VALU_DEP_1)
	v_and_b32_e32 v27, 0xff, v27
	v_mul_u32_u24_e32 v33, 12, v27
	s_delay_alu instid0(VALU_DEP_1)
	v_lshlrev_b32_e32 v33, 3, v33
	s_clause 0x5
	global_load_b128 v[46:49], v33, s[8:9]
	global_load_b128 v[52:55], v33, s[8:9] offset:16
	global_load_b128 v[56:59], v33, s[8:9] offset:32
	;; [unrolled: 1-line block ×5, first 2 shown]
	global_wb scope:SCOPE_SE
	s_wait_loadcnt_dscnt 0x0
	s_barrier_signal -1
	s_barrier_wait -1
	global_inv scope:SCOPE_SE
	v_mul_f32_e32 v44, v5, v49
	v_dual_mul_f32 v42, v9, v55 :: v_dual_mul_f32 v49, v4, v49
	v_dual_mul_f32 v40, v17, v59 :: v_dual_mul_f32 v43, v7, v53
	;; [unrolled: 1-line block ×4, first 2 shown]
	v_dual_mul_f32 v45, v3, v47 :: v_dual_fmac_f32 v44, v4, v48
	s_delay_alu instid0(VALU_DEP_4)
	v_dual_mul_f32 v53, v6, v53 :: v_dual_fmac_f32 v40, v16, v58
	v_mul_f32_e32 v33, v31, v71
	v_fma_f32 v50, v5, v48, -v49
	v_dual_fmac_f32 v38, v12, v62 :: v_dual_fmac_f32 v41, v10, v56
	v_fmac_f32_e32 v34, v22, v68
	v_fma_f32 v48, v9, v54, -v55
	v_mul_f32_e32 v37, v21, v67
	s_delay_alu instid0(VALU_DEP_4)
	v_dual_mul_f32 v67, v20, v67 :: v_dual_sub_f32 v76, v41, v38
	v_dual_mul_f32 v47, v2, v47 :: v_dual_fmac_f32 v42, v8, v54
	v_dual_mul_f32 v39, v19, v61 :: v_dual_add_f32 v74, v44, v34
	v_fmac_f32_e32 v45, v2, v46
	v_fma_f32 v49, v7, v52, -v53
	v_fmac_f32_e32 v33, v30, v70
	v_mul_f32_e32 v59, v16, v59
	v_fma_f32 v16, v21, v66, -v67
	v_mul_f32_e32 v61, v18, v61
	v_fma_f32 v51, v3, v46, -v47
	v_dual_fmac_f32 v43, v6, v52 :: v_dual_sub_f32 v80, v45, v33
	v_fma_f32 v46, v17, v58, -v59
	v_add_f32_e32 v6, v49, v16
	v_fma_f32 v19, v19, v60, -v61
	v_fmac_f32_e32 v37, v20, v66
	v_mul_f32_e32 v63, v12, v63
	v_mul_f32_e32 v35, v15, v65
	v_sub_f32_e32 v7, v49, v16
	v_fmac_f32_e32 v39, v18, v60
	v_add_f32_e32 v12, v46, v19
	v_add_f32_e32 v72, v43, v37
	v_fma_f32 v18, v13, v62, -v63
	v_mul_f32_e32 v65, v14, v65
	s_delay_alu instid0(VALU_DEP_4) | instskip(SKIP_2) | instid1(VALU_DEP_4)
	v_dual_mul_f32 v71, v30, v71 :: v_dual_mul_f32 v90, 0xbf3f9e67, v12
	v_mul_f32_e32 v127, 0xbf3f9e67, v6
	v_mul_f32_e32 v58, 0x3df6dbef, v6
	v_fma_f32 v17, v15, v64, -v65
	v_mul_f32_e32 v119, 0x3df6dbef, v12
	v_mul_f32_e32 v92, 0xbeb58ec6, v6
	;; [unrolled: 1-line block ×4, first 2 shown]
	v_dual_add_f32 v8, v48, v17 :: v_dual_sub_f32 v13, v46, v19
	v_sub_f32_e32 v9, v48, v17
	v_sub_f32_e32 v79, v44, v34
	s_delay_alu instid0(VALU_DEP_3)
	v_dual_mul_f32 v115, 0x3f116cb1, v6 :: v_dual_mul_f32 v126, 0x3f116cb1, v8
	v_mul_f32_e32 v102, 0x3df6dbef, v8
	v_mul_f32_e32 v20, 0xbe750f2a, v13
	v_dual_mul_f32 v52, 0xbf7e222b, v7 :: v_dual_mul_f32 v69, v22, v69
	v_add_f32_e32 v82, v40, v39
	v_mul_f32_e32 v22, 0xbf6f5d39, v9
	v_mul_f32_e32 v60, 0x3f29c268, v9
	;; [unrolled: 1-line block ×3, first 2 shown]
	v_fma_f32 v15, v23, v68, -v69
	v_mul_f32_e32 v110, 0xbf52af12, v7
	v_mul_f32_e32 v54, 0xbeb58ec6, v8
	;; [unrolled: 1-line block ×4, first 2 shown]
	v_add_f32_e32 v4, v50, v15
	v_fmac_f32_e32 v35, v14, v64
	v_fma_f32 v14, v31, v70, -v71
	v_mul_f32_e32 v57, v10, v57
	s_delay_alu instid0(VALU_DEP_4) | instskip(SKIP_1) | instid1(VALU_DEP_4)
	v_dual_sub_f32 v5, v50, v15 :: v_dual_mul_f32 v84, 0xbf788fa5, v4
	v_mul_f32_e32 v70, 0xbf788fa5, v6
	v_sub_f32_e32 v3, v51, v14
	v_add_f32_e32 v2, v51, v14
	v_fma_f32 v47, v11, v56, -v57
	v_mul_f32_e32 v31, 0xbf52af12, v5
	v_sub_f32_e32 v71, v42, v35
	v_dual_mul_f32 v30, 0xbeedf032, v3 :: v_dual_add_f32 v81, v45, v33
	s_delay_alu instid0(VALU_DEP_4)
	v_sub_f32_e32 v11, v47, v18
	v_mul_f32_e32 v56, 0x3f62ad3f, v2
	v_mul_f32_e32 v68, 0x3f116cb1, v2
	v_dual_mul_f32 v85, 0x3df6dbef, v2 :: v_dual_mul_f32 v116, 0x3df6dbef, v4
	v_mul_f32_e32 v105, 0xbeb58ec6, v2
	v_mul_f32_e32 v117, 0xbf3f9e67, v2
	;; [unrolled: 1-line block ×3, first 2 shown]
	v_fma_f32 v2, 0x3f62ad3f, v81, -v30
	v_dual_sub_f32 v83, v40, v39 :: v_dual_mul_f32 v104, 0xbf3f9e67, v4
	v_mul_f32_e32 v61, 0xbf52af12, v3
	v_dual_mul_f32 v103, 0x3f62ad3f, v6 :: v_dual_mul_f32 v128, 0x3f62ad3f, v4
	v_dual_mul_f32 v120, 0xbf6f5d39, v11 :: v_dual_fmamk_f32 v141, v80, 0xbf6f5d39, v105
	v_fma_f32 v6, 0x3f116cb1, v74, -v31
	v_add_f32_e32 v2, v0, v2
	v_dual_add_f32 v10, v47, v18 :: v_dual_mul_f32 v77, 0xbf7e222b, v3
	v_fmamk_f32 v136, v80, 0xbf7e222b, v85
	s_delay_alu instid0(VALU_DEP_3) | instskip(SKIP_4) | instid1(VALU_DEP_3)
	v_dual_mul_f32 v57, 0x3f116cb1, v4 :: v_dual_add_f32 v2, v6, v2
	v_dual_mul_f32 v99, 0x3f29c268, v5 :: v_dual_fmamk_f32 v6, v79, 0x3f29c268, v104
	v_add_f32_e32 v141, v1, v141
	v_dual_add_f32 v67, v42, v35 :: v_dual_mul_f32 v62, 0xbf6f5d39, v5
	v_dual_sub_f32 v73, v43, v37 :: v_dual_mul_f32 v64, 0x3df6dbef, v10
	v_dual_mul_f32 v69, 0xbeb58ec6, v4 :: v_dual_add_f32 v6, v6, v141
	v_dual_mul_f32 v63, 0xbe750f2a, v7 :: v_dual_fmamk_f32 v138, v79, 0xbe750f2a, v84
	v_dual_mul_f32 v87, 0x3f6f5d39, v7 :: v_dual_add_f32 v136, v1, v136
	v_mul_f32_e32 v124, 0xbe750f2a, v3
	v_fma_f32 v4, 0x3f116cb1, v81, -v61
	v_fmamk_f32 v141, v80, 0xbe750f2a, v129
	v_mul_f32_e32 v21, 0xbf29c268, v11
	v_dual_mul_f32 v89, 0xbf52af12, v11 :: v_dual_add_f32 v136, v138, v136
	v_dual_mul_f32 v91, 0x3f116cb1, v10 :: v_dual_mul_f32 v100, 0x3f116cb1, v12
	v_mul_f32_e32 v98, 0xbf6f5d39, v3
	v_mul_f32_e32 v101, 0xbf788fa5, v10
	;; [unrolled: 1-line block ×3, first 2 shown]
	v_fma_f32 v132, 0xbf3f9e67, v67, -v60
	v_dual_mul_f32 v113, 0x3f62ad3f, v10 :: v_dual_add_f32 v4, v0, v4
	v_fma_f32 v138, 0xbf788fa5, v81, -v124
	v_mul_f32_e32 v65, 0xbf3f9e67, v8
	v_add_f32_e32 v141, v1, v141
	v_mul_f32_e32 v93, 0x3f62ad3f, v8
	v_fma_f32 v8, 0xbeb58ec6, v74, -v62
	v_mul_f32_e32 v53, 0xbf3f9e67, v10
	v_fma_f32 v10, 0x3df6dbef, v72, -v52
	v_dual_mul_f32 v78, 0xbe750f2a, v5 :: v_dual_add_f32 v75, v41, v38
	v_mul_f32_e32 v97, 0xbf7e222b, v9
	v_mul_f32_e32 v109, 0x3e750f2a, v9
	v_fma_f32 v130, 0xbeb58ec6, v67, -v22
	v_dual_add_f32 v2, v10, v2 :: v_dual_mul_f32 v121, 0x3f52af12, v9
	v_fmamk_f32 v9, v79, 0xbf6f5d39, v69
	v_fma_f32 v139, 0xbeb58ec6, v81, -v98
	v_mul_f32_e32 v123, 0x3eedf032, v5
	v_fma_f32 v140, 0xbf3f9e67, v74, -v99
	v_fma_f32 v135, 0x3df6dbef, v81, -v77
	v_add_f32_e32 v4, v8, v4
	v_add_f32_e32 v139, v0, v139
	v_dual_add_f32 v138, v0, v138 :: v_dual_mul_f32 v59, 0x3f7e222b, v11
	v_mul_f32_e32 v118, 0x3f7e222b, v13
	v_fma_f32 v134, 0xbf3f9e67, v75, -v21
	s_delay_alu instid0(VALU_DEP_4)
	v_add_f32_e32 v139, v140, v139
	v_fma_f32 v140, 0x3f62ad3f, v74, -v123
	v_mul_f32_e32 v23, 0xbf788fa5, v12
	v_fma_f32 v12, 0xbf788fa5, v72, -v63
	v_mul_f32_e32 v95, 0x3e750f2a, v11
	v_dual_add_f32 v135, v0, v135 :: v_dual_add_f32 v2, v130, v2
	v_dual_mul_f32 v55, 0x3eedf032, v13 :: v_dual_mul_f32 v96, 0x3eedf032, v7
	s_delay_alu instid0(VALU_DEP_4)
	v_add_f32_e32 v4, v12, v4
	v_fmamk_f32 v12, v73, 0x3f6f5d39, v92
	v_mul_f32_e32 v111, 0x3f7e222b, v5
	v_fmamk_f32 v5, v80, 0xbf52af12, v68
	v_mul_f32_e32 v112, 0xbf29c268, v3
	v_dual_fmamk_f32 v3, v80, 0xbeedf032, v56 :: v_dual_add_f32 v2, v134, v2
	v_mul_f32_e32 v94, 0x3f52af12, v13
	s_delay_alu instid0(VALU_DEP_4) | instskip(NEXT) | instid1(VALU_DEP_3)
	v_dual_add_f32 v5, v1, v5 :: v_dual_mul_f32 v122, 0xbf29c268, v7
	v_dual_add_f32 v3, v1, v3 :: v_dual_add_f32 v138, v140, v138
	v_fma_f32 v140, 0x3df6dbef, v75, -v59
	s_delay_alu instid0(VALU_DEP_3) | instskip(SKIP_4) | instid1(VALU_DEP_4)
	v_dual_add_f32 v5, v9, v5 :: v_dual_add_f32 v4, v132, v4
	v_fmamk_f32 v7, v79, 0xbf52af12, v57
	v_mul_f32_e32 v107, 0x3eedf032, v11
	v_fmamk_f32 v11, v73, 0xbf7e222b, v58
	v_fma_f32 v137, 0xbf788fa5, v74, -v78
	v_dual_add_f32 v4, v140, v4 :: v_dual_add_f32 v3, v7, v3
	v_fma_f32 v7, 0xbf3f9e67, v81, -v112
	v_fma_f32 v140, 0x3f116cb1, v82, -v94
	s_delay_alu instid0(VALU_DEP_4) | instskip(NEXT) | instid1(VALU_DEP_4)
	v_dual_add_f32 v135, v137, v135 :: v_dual_fmamk_f32 v142, v83, 0xbf6f5d39, v108
	v_add_f32_e32 v3, v11, v3
	v_fma_f32 v11, 0xbeb58ec6, v72, -v87
	v_add_f32_e32 v12, v12, v136
	v_fma_f32 v8, 0x3df6dbef, v74, -v111
	v_fma_f32 v130, 0x3f62ad3f, v67, -v88
	;; [unrolled: 1-line block ×3, first 2 shown]
	v_add_f32_e32 v7, v0, v7
	v_add_f32_e32 v11, v11, v135
	v_fmamk_f32 v135, v73, 0x3eedf032, v103
	v_dual_mul_f32 v106, 0xbf6f5d39, v13 :: v_dual_fmamk_f32 v131, v71, 0xbf6f5d39, v54
	s_delay_alu instid0(VALU_DEP_4) | instskip(NEXT) | instid1(VALU_DEP_3)
	v_dual_add_f32 v7, v8, v7 :: v_dual_fmamk_f32 v8, v79, 0x3eedf032, v128
	v_add_f32_e32 v6, v135, v6
	v_fma_f32 v135, 0xbf3f9e67, v72, -v122
	v_dual_add_f32 v11, v130, v11 :: v_dual_fmamk_f32 v130, v71, 0xbf7e222b, v102
	s_delay_alu instid0(VALU_DEP_4) | instskip(SKIP_1) | instid1(VALU_DEP_4)
	v_add_f32_e32 v8, v8, v141
	v_fma_f32 v136, 0x3f116cb1, v72, -v110
	v_add_f32_e32 v135, v135, v138
	v_add_f32_e32 v3, v131, v3
	v_dual_fmamk_f32 v131, v71, 0x3eedf032, v93 :: v_dual_add_f32 v6, v130, v6
	v_fma_f32 v130, 0x3f116cb1, v67, -v121
	v_add_f32_e32 v7, v136, v7
	v_fma_f32 v132, 0x3f116cb1, v75, -v89
	s_delay_alu instid0(VALU_DEP_4) | instskip(SKIP_2) | instid1(VALU_DEP_4)
	v_add_f32_e32 v12, v131, v12
	v_fma_f32 v131, 0xbf788fa5, v67, -v109
	v_add_f32_e32 v130, v130, v135
	v_dual_fmamk_f32 v136, v73, 0xbf29c268, v127 :: v_dual_add_f32 v11, v132, v11
	v_fma_f32 v132, 0x3f62ad3f, v75, -v107
	s_delay_alu instid0(VALU_DEP_4) | instskip(NEXT) | instid1(VALU_DEP_3)
	v_add_f32_e32 v7, v131, v7
	v_dual_fmamk_f32 v131, v71, 0x3f52af12, v126 :: v_dual_add_f32 v8, v136, v8
	v_fma_f32 v10, 0xbf788fa5, v82, -v20
	s_delay_alu instid0(VALU_DEP_3) | instskip(NEXT) | instid1(VALU_DEP_3)
	v_dual_fmamk_f32 v137, v79, 0x3f7e222b, v116 :: v_dual_add_f32 v132, v132, v7
	v_dual_fmamk_f32 v13, v73, 0xbe750f2a, v70 :: v_dual_add_f32 v8, v131, v8
	v_fmamk_f32 v7, v76, 0xbf6f5d39, v125
	v_fmamk_f32 v9, v80, 0xbf29c268, v117
	;; [unrolled: 1-line block ×3, first 2 shown]
	s_delay_alu instid0(VALU_DEP_4) | instskip(SKIP_1) | instid1(VALU_DEP_4)
	v_add_f32_e32 v5, v13, v5
	v_fma_f32 v13, 0x3f62ad3f, v72, -v96
	v_dual_add_f32 v144, v7, v8 :: v_dual_add_f32 v9, v1, v9
	v_add_f32_e32 v8, v10, v2
	v_fma_f32 v134, 0xbf788fa5, v75, -v95
	s_delay_alu instid0(VALU_DEP_4)
	v_add_f32_e32 v13, v13, v139
	v_fmamk_f32 v139, v73, 0xbf52af12, v115
	v_add_f32_e32 v9, v137, v9
	v_fmamk_f32 v137, v76, 0xbf29c268, v53
	v_fma_f32 v138, 0x3f62ad3f, v82, -v55
	v_fmamk_f32 v136, v83, 0x3eedf032, v66
	v_fma_f32 v135, 0xbf3f9e67, v82, -v86
	v_add_f32_e32 v9, v139, v9
	v_add_f32_e32 v3, v137, v3
	v_fmamk_f32 v137, v76, 0x3e750f2a, v101
	v_fmamk_f32 v139, v83, 0xbe750f2a, v23
	;; [unrolled: 1-line block ×3, first 2 shown]
	v_dual_fmamk_f32 v145, v83, 0x3f7e222b, v119 :: v_dual_add_f32 v4, v138, v4
	s_delay_alu instid0(VALU_DEP_4) | instskip(SKIP_1) | instid1(VALU_DEP_1)
	v_add_f32_e32 v137, v137, v6
	v_fma_f32 v6, 0xbeb58ec6, v75, -v120
	v_dual_fmamk_f32 v133, v71, 0x3f29c268, v65 :: v_dual_add_f32 v130, v6, v130
	s_delay_alu instid0(VALU_DEP_1) | instskip(SKIP_2) | instid1(VALU_DEP_3)
	v_add_f32_e32 v5, v133, v5
	v_fma_f32 v133, 0x3df6dbef, v67, -v97
	v_add_f32_e32 v6, v135, v11
	v_dual_add_f32 v2, v143, v130 :: v_dual_add_f32 v5, v141, v5
	s_delay_alu instid0(VALU_DEP_3) | instskip(SKIP_2) | instid1(VALU_DEP_4)
	v_add_f32_e32 v13, v133, v13
	v_fmamk_f32 v133, v71, 0x3e750f2a, v114
	v_fmamk_f32 v141, v83, 0x3f52af12, v100
	v_add_f32_e32 v5, v136, v5
	s_delay_alu instid0(VALU_DEP_4) | instskip(NEXT) | instid1(VALU_DEP_4)
	v_add_f32_e32 v13, v134, v13
	v_add_f32_e32 v9, v133, v9
	v_fmamk_f32 v133, v76, 0xbf52af12, v91
	v_fma_f32 v134, 0xbeb58ec6, v82, -v106
	s_delay_alu instid0(VALU_DEP_2) | instskip(NEXT) | instid1(VALU_DEP_2)
	v_dual_add_f32 v12, v133, v12 :: v_dual_fmamk_f32 v133, v76, 0x3eedf032, v113
	v_add_f32_e32 v10, v134, v132
	s_delay_alu instid0(VALU_DEP_2) | instskip(NEXT) | instid1(VALU_DEP_3)
	v_add_f32_e32 v7, v131, v12
	v_add_f32_e32 v133, v133, v9
	v_dual_add_f32 v9, v139, v3 :: v_dual_add_f32 v12, v140, v13
	v_add_f32_e32 v13, v141, v137
	v_add_f32_e32 v3, v145, v144
	s_delay_alu instid0(VALU_DEP_4)
	v_add_f32_e32 v11, v142, v133
	s_and_saveexec_b32 s1, s0
	s_cbranch_execz .LBB0_17
; %bb.16:
	v_mul_f32_e32 v130, 0xbe750f2a, v80
	v_mul_f32_e32 v132, 0xbeedf032, v80
	;; [unrolled: 1-line block ×4, first 2 shown]
	v_add_f32_e32 v51, v1, v51
	v_sub_f32_e32 v129, v129, v130
	s_delay_alu instid0(VALU_DEP_4) | instskip(NEXT) | instid1(VALU_DEP_2)
	v_dual_add_f32 v124, v137, v124 :: v_dual_mul_f32 v137, 0xbf29c268, v83
	v_dual_add_f32 v50, v51, v50 :: v_dual_add_f32 v129, v1, v129
	s_delay_alu instid0(VALU_DEP_2) | instskip(SKIP_1) | instid1(VALU_DEP_3)
	v_dual_mul_f32 v133, 0x3eedf032, v79 :: v_dual_add_f32 v124, v0, v124
	v_sub_f32_e32 v51, v56, v132
	v_add_f32_e32 v49, v50, v49
	s_delay_alu instid0(VALU_DEP_3) | instskip(NEXT) | instid1(VALU_DEP_1)
	v_dual_sub_f32 v128, v128, v133 :: v_dual_mul_f32 v133, 0x3f52af12, v71
	v_dual_add_f32 v128, v128, v129 :: v_dual_mul_f32 v129, 0x3f62ad3f, v74
	s_delay_alu instid0(VALU_DEP_2) | instskip(SKIP_2) | instid1(VALU_DEP_4)
	v_sub_f32_e32 v126, v126, v133
	v_mul_f32_e32 v135, 0xbf29c268, v73
	v_mul_f32_e32 v134, 0x3f116cb1, v81
	v_dual_mul_f32 v130, 0xbf52af12, v80 :: v_dual_add_f32 v123, v129, v123
	v_mul_f32_e32 v129, 0x3f62ad3f, v72
	s_delay_alu instid0(VALU_DEP_4) | instskip(SKIP_1) | instid1(VALU_DEP_4)
	v_dual_sub_f32 v127, v127, v135 :: v_dual_mul_f32 v136, 0x3df6dbef, v81
	v_mul_f32_e32 v133, 0x3df6dbef, v67
	v_dual_add_f32 v123, v123, v124 :: v_dual_mul_f32 v124, 0xbf52af12, v79
	s_delay_alu instid0(VALU_DEP_3) | instskip(SKIP_2) | instid1(VALU_DEP_3)
	v_add_f32_e32 v127, v127, v128
	v_dual_mul_f32 v128, 0xbf6f5d39, v76 :: v_dual_add_f32 v61, v134, v61
	v_add_f32_e32 v96, v129, v96
	v_dual_add_f32 v126, v126, v127 :: v_dual_mul_f32 v127, 0xbf3f9e67, v72
	v_mul_f32_e32 v135, 0xbeb58ec6, v81
	s_delay_alu instid0(VALU_DEP_4) | instskip(SKIP_1) | instid1(VALU_DEP_4)
	v_dual_sub_f32 v125, v125, v128 :: v_dual_mul_f32 v128, 0x3f116cb1, v74
	v_mul_f32_e32 v138, 0xbf7e222b, v80
	v_dual_add_f32 v122, v127, v122 :: v_dual_mul_f32 v139, 0xbf6f5d39, v80
	s_delay_alu instid0(VALU_DEP_3) | instskip(SKIP_1) | instid1(VALU_DEP_3)
	v_add_f32_e32 v125, v125, v126
	v_mul_f32_e32 v127, 0xbeb58ec6, v74
	v_dual_sub_f32 v85, v85, v138 :: v_dual_add_f32 v122, v122, v123
	v_mul_f32_e32 v126, 0x3f116cb1, v67
	v_dual_mul_f32 v80, 0xbf29c268, v80 :: v_dual_sub_f32 v105, v105, v139
	s_delay_alu instid0(VALU_DEP_2) | instskip(NEXT) | instid1(VALU_DEP_2)
	v_dual_add_f32 v98, v135, v98 :: v_dual_add_f32 v121, v126, v121
	v_dual_mul_f32 v81, 0xbf3f9e67, v81 :: v_dual_sub_f32 v80, v117, v80
	v_mul_f32_e32 v123, 0x3f7e222b, v79
	s_delay_alu instid0(VALU_DEP_3) | instskip(NEXT) | instid1(VALU_DEP_3)
	v_dual_mul_f32 v126, 0xbeb58ec6, v75 :: v_dual_add_f32 v121, v121, v122
	v_dual_mul_f32 v122, 0xbf52af12, v73 :: v_dual_add_f32 v81, v81, v112
	s_delay_alu instid0(VALU_DEP_4) | instskip(NEXT) | instid1(VALU_DEP_4)
	v_add_f32_e32 v80, v1, v80
	v_dual_sub_f32 v116, v116, v123 :: v_dual_mul_f32 v123, 0xbf788fa5, v74
	s_delay_alu instid0(VALU_DEP_4) | instskip(NEXT) | instid1(VALU_DEP_4)
	v_add_f32_e32 v120, v126, v120
	v_dual_mul_f32 v126, 0xbe750f2a, v79 :: v_dual_sub_f32 v115, v115, v122
	s_delay_alu instid0(VALU_DEP_3) | instskip(SKIP_4) | instid1(VALU_DEP_4)
	v_add_f32_e32 v80, v116, v80
	v_dual_mul_f32 v116, 0x3f7e222b, v83 :: v_dual_add_f32 v81, v0, v81
	v_mul_f32_e32 v122, 0xbf3f9e67, v74
	v_mul_f32_e32 v74, 0x3df6dbef, v74
	v_add_f32_e32 v120, v120, v121
	v_dual_sub_f32 v116, v119, v116 :: v_dual_mul_f32 v121, 0x3e750f2a, v71
	v_mul_f32_e32 v117, 0xbf6f5d39, v79
	v_mul_f32_e32 v79, 0x3f29c268, v79
	;; [unrolled: 1-line block ×3, first 2 shown]
	v_dual_add_f32 v80, v115, v80 :: v_dual_mul_f32 v115, 0xbf7e222b, v73
	s_delay_alu instid0(VALU_DEP_3) | instskip(SKIP_2) | instid1(VALU_DEP_3)
	v_dual_mul_f32 v112, 0x3df6dbef, v82 :: v_dual_sub_f32 v79, v104, v79
	v_sub_f32_e32 v114, v114, v121
	v_dual_add_f32 v74, v74, v111 :: v_dual_mul_f32 v111, 0xbe750f2a, v73
	v_dual_add_f32 v112, v112, v118 :: v_dual_mul_f32 v121, 0xbf788fa5, v72
	v_add_f32_e32 v105, v1, v105
	s_delay_alu instid0(VALU_DEP_3)
	v_dual_add_f32 v74, v74, v81 :: v_dual_mul_f32 v81, 0xbeb58ec6, v72
	v_add_f32_e32 v80, v114, v80
	v_mul_f32_e32 v114, 0x3eedf032, v76
	v_mul_f32_e32 v118, 0x3f116cb1, v72
	;; [unrolled: 1-line block ×3, first 2 shown]
	v_add_f32_e32 v79, v79, v105
	v_mul_f32_e32 v105, 0x3eedf032, v71
	v_sub_f32_e32 v113, v113, v114
	v_add_f32_e32 v110, v118, v110
	v_mul_f32_e32 v118, 0x3f6f5d39, v73
	v_dual_mul_f32 v104, 0x3f29c268, v71 :: v_dual_sub_f32 v103, v103, v72
	v_add_f32_e32 v99, v122, v99
	s_delay_alu instid0(VALU_DEP_4)
	v_dual_add_f32 v73, v110, v74 :: v_dual_mul_f32 v114, 0xbf788fa5, v67
	v_mul_f32_e32 v110, 0xbeb58ec6, v67
	v_add_f32_e32 v98, v0, v98
	v_sub_f32_e32 v84, v84, v126
	v_add_f32_e32 v78, v123, v78
	v_dual_add_f32 v74, v114, v109 :: v_dual_mul_f32 v109, 0xbf6f5d39, v71
	v_dual_add_f32 v80, v113, v80 :: v_dual_mul_f32 v113, 0x3f62ad3f, v75
	v_dual_add_f32 v98, v99, v98 :: v_dual_sub_f32 v69, v69, v117
	v_sub_f32_e32 v65, v65, v104
	v_add_f32_e32 v63, v121, v63
	s_delay_alu instid0(VALU_DEP_4) | instskip(SKIP_4) | instid1(VALU_DEP_3)
	v_add_f32_e32 v107, v113, v107
	v_mul_f32_e32 v113, 0x3f62ad3f, v67
	v_dual_add_f32 v73, v74, v73 :: v_dual_mul_f32 v74, 0xbf6f5d39, v83
	v_mul_f32_e32 v114, 0xbf3f9e67, v67
	v_mul_f32_e32 v67, 0xbf7e222b, v71
	v_dual_add_f32 v71, v107, v73 :: v_dual_sub_f32 v74, v108, v74
	v_mul_f32_e32 v108, 0xbeb58ec6, v82
	v_mul_f32_e32 v73, 0xbf3f9e67, v75
	;; [unrolled: 1-line block ×3, first 2 shown]
	v_sub_f32_e32 v67, v102, v67
	v_add_f32_e32 v72, v74, v80
	v_add_f32_e32 v106, v108, v106
	v_mul_f32_e32 v80, 0x3f7e222b, v76
	v_dual_add_f32 v74, v103, v79 :: v_dual_mul_f32 v79, 0xbf52af12, v76
	v_mul_f32_e32 v76, 0x3e750f2a, v76
	v_mul_f32_e32 v108, 0x3df6dbef, v75
	v_add_f32_e32 v71, v106, v71
	v_mul_f32_e32 v106, 0x3f116cb1, v75
	v_mul_f32_e32 v75, 0xbf788fa5, v75
	v_dual_mul_f32 v103, 0xbe750f2a, v83 :: v_dual_add_f32 v74, v67, v74
	v_dual_mul_f32 v135, 0x3eedf032, v83 :: v_dual_sub_f32 v76, v101, v76
	v_mul_f32_e32 v83, 0x3f52af12, v83
	s_delay_alu instid0(VALU_DEP_4) | instskip(SKIP_1) | instid1(VALU_DEP_4)
	v_dual_mul_f32 v122, 0x3f62ad3f, v82 :: v_dual_add_f32 v75, v75, v95
	v_mul_f32_e32 v101, 0xbf3f9e67, v82
	v_add_f32_e32 v74, v76, v74
	s_delay_alu instid0(VALU_DEP_4) | instskip(SKIP_2) | instid1(VALU_DEP_3)
	v_dual_sub_f32 v76, v100, v83 :: v_dual_add_f32 v83, v1, v85
	v_dual_mul_f32 v102, 0xbf788fa5, v82 :: v_dual_sub_f32 v79, v91, v79
	v_dual_add_f32 v85, v96, v98 :: v_dual_add_f32 v96, v133, v97
	v_add_f32_e32 v74, v76, v74
	v_add_f32_e32 v76, v136, v77
	;; [unrolled: 1-line block ×5, first 2 shown]
	v_sub_f32_e32 v64, v64, v80
	v_add_f32_e32 v76, v0, v76
	v_sub_f32_e32 v83, v92, v118
	v_dual_add_f32 v59, v108, v59 :: v_dual_add_f32 v30, v131, v30
	s_delay_alu instid0(VALU_DEP_3) | instskip(NEXT) | instid1(VALU_DEP_3)
	v_add_f32_e32 v76, v78, v76
	v_dual_mul_f32 v82, 0x3f116cb1, v82 :: v_dual_add_f32 v77, v83, v77
	v_sub_f32_e32 v83, v93, v105
	s_delay_alu instid0(VALU_DEP_2) | instskip(NEXT) | instid1(VALU_DEP_2)
	v_dual_add_f32 v78, v81, v87 :: v_dual_add_f32 v81, v82, v94
	v_dual_add_f32 v77, v83, v77 :: v_dual_sub_f32 v68, v68, v130
	s_delay_alu instid0(VALU_DEP_2) | instskip(NEXT) | instid1(VALU_DEP_2)
	v_add_f32_e32 v76, v78, v76
	v_dual_add_f32 v78, v113, v88 :: v_dual_add_f32 v77, v79, v77
	s_delay_alu instid0(VALU_DEP_3) | instskip(SKIP_1) | instid1(VALU_DEP_2)
	v_dual_add_f32 v68, v1, v68 :: v_dual_add_f32 v79, v127, v62
	v_add_f32_e32 v1, v1, v51
	v_dual_add_f32 v68, v69, v68 :: v_dual_sub_f32 v69, v70, v111
	s_delay_alu instid0(VALU_DEP_4) | instskip(SKIP_1) | instid1(VALU_DEP_3)
	v_add_f32_e32 v70, v78, v76
	v_dual_add_f32 v76, v106, v89 :: v_dual_add_f32 v75, v75, v84
	v_add_f32_e32 v68, v69, v68
	s_delay_alu instid0(VALU_DEP_2) | instskip(NEXT) | instid1(VALU_DEP_1)
	v_dual_sub_f32 v78, v90, v137 :: v_dual_add_f32 v69, v76, v70
	v_dual_add_f32 v65, v65, v68 :: v_dual_add_f32 v62, v78, v77
	s_delay_alu instid0(VALU_DEP_1) | instskip(SKIP_1) | instid1(VALU_DEP_2)
	v_dual_add_f32 v64, v64, v65 :: v_dual_sub_f32 v65, v66, v135
	v_add_f32_e32 v66, v0, v45
	v_dual_add_f32 v76, v0, v61 :: v_dual_add_f32 v45, v65, v64
	s_delay_alu instid0(VALU_DEP_2) | instskip(NEXT) | instid1(VALU_DEP_2)
	v_add_f32_e32 v44, v66, v44
	v_add_f32_e32 v68, v79, v76
	;; [unrolled: 1-line block ×3, first 2 shown]
	s_delay_alu instid0(VALU_DEP_3) | instskip(NEXT) | instid1(VALU_DEP_3)
	v_dual_add_f32 v43, v44, v43 :: v_dual_sub_f32 v44, v57, v124
	v_dual_add_f32 v70, v101, v86 :: v_dual_add_f32 v63, v63, v68
	v_add_f32_e32 v60, v114, v60
	s_delay_alu instid0(VALU_DEP_3) | instskip(SKIP_1) | instid1(VALU_DEP_3)
	v_dual_add_f32 v42, v43, v42 :: v_dual_add_f32 v1, v44, v1
	v_sub_f32_e32 v43, v58, v115
	v_dual_add_f32 v61, v70, v69 :: v_dual_add_f32 v56, v60, v63
	s_delay_alu instid0(VALU_DEP_3) | instskip(NEXT) | instid1(VALU_DEP_1)
	v_add_f32_e32 v41, v42, v41
	v_dual_add_f32 v1, v43, v1 :: v_dual_add_f32 v40, v41, v40
	v_dual_add_f32 v48, v49, v48 :: v_dual_sub_f32 v41, v54, v109
	s_delay_alu instid0(VALU_DEP_1) | instskip(NEXT) | instid1(VALU_DEP_2)
	v_add_f32_e32 v44, v48, v47
	v_dual_add_f32 v50, v59, v56 :: v_dual_add_f32 v1, v41, v1
	v_add_f32_e32 v0, v0, v30
	v_add_f32_e32 v30, v128, v31
	s_delay_alu instid0(VALU_DEP_4) | instskip(NEXT) | instid1(VALU_DEP_1)
	v_add_f32_e32 v31, v44, v46
	v_add_f32_e32 v19, v31, v19
	;; [unrolled: 1-line block ×3, first 2 shown]
	s_delay_alu instid0(VALU_DEP_2) | instskip(NEXT) | instid1(VALU_DEP_2)
	v_dual_sub_f32 v39, v53, v107 :: v_dual_add_f32 v18, v19, v18
	v_add_f32_e32 v19, v31, v38
	s_delay_alu instid0(VALU_DEP_2) | instskip(NEXT) | instid1(VALU_DEP_3)
	v_add_f32_e32 v1, v39, v1
	v_add_f32_e32 v17, v18, v17
	;; [unrolled: 1-line block ×3, first 2 shown]
	s_delay_alu instid0(VALU_DEP_4) | instskip(SKIP_2) | instid1(VALU_DEP_3)
	v_dual_add_f32 v18, v19, v35 :: v_dual_add_f32 v19, v73, v21
	v_add_f32_e32 v30, v119, v52
	v_dual_sub_f32 v21, v23, v103 :: v_dual_add_f32 v22, v110, v22
	v_dual_add_f32 v16, v17, v16 :: v_dual_add_f32 v17, v18, v37
	s_delay_alu instid0(VALU_DEP_3) | instskip(NEXT) | instid1(VALU_DEP_3)
	v_add_f32_e32 v0, v30, v0
	v_dual_add_f32 v1, v21, v1 :: v_dual_and_b32 v18, 0xffff, v32
	s_delay_alu instid0(VALU_DEP_3) | instskip(NEXT) | instid1(VALU_DEP_3)
	v_dual_add_f32 v15, v16, v15 :: v_dual_add_f32 v16, v17, v34
	v_dual_add_f32 v0, v22, v0 :: v_dual_add_f32 v73, v81, v75
	s_delay_alu instid0(VALU_DEP_3) | instskip(SKIP_1) | instid1(VALU_DEP_4)
	v_mul_u32_u24_e32 v17, 0x410, v18
	v_lshlrev_b32_e32 v18, 3, v27
	v_dual_add_f32 v30, v122, v55 :: v_dual_add_f32 v15, v15, v14
	s_delay_alu instid0(VALU_DEP_4) | instskip(SKIP_1) | instid1(VALU_DEP_4)
	v_add_f32_e32 v0, v19, v0
	v_dual_add_f32 v19, v102, v20 :: v_dual_add_f32 v14, v16, v33
	v_add3_u32 v16, 0, v17, v18
	s_delay_alu instid0(VALU_DEP_4) | instskip(NEXT) | instid1(VALU_DEP_3)
	v_add_f32_e32 v44, v30, v50
	v_add_f32_e32 v0, v19, v0
	ds_store_2addr_b64 v16, v[14:15], v[0:1] offset1:10
	ds_store_2addr_b64 v16, v[44:45], v[61:62] offset0:20 offset1:30
	ds_store_2addr_b64 v16, v[73:74], v[71:72] offset0:40 offset1:50
	;; [unrolled: 1-line block ×5, first 2 shown]
	ds_store_b64 v16, v[8:9] offset:960
.LBB0_17:
	s_wait_alu 0xfffe
	s_or_b32 exec_lo, exec_lo, s1
	global_wb scope:SCOPE_SE
	s_wait_dscnt 0x0
	s_barrier_signal -1
	s_barrier_wait -1
	global_inv scope:SCOPE_SE
	ds_load_b64 v[16:17], v36
	ds_load_b64 v[34:35], v36 offset:2080
	ds_load_b64 v[32:33], v36 offset:4160
	;; [unrolled: 1-line block ×6, first 2 shown]
	v_cmp_gt_u32_e64 s0, 0x4e, v26
                                        ; implicit-def: $vgpr15
	s_delay_alu instid0(VALU_DEP_1)
	s_and_saveexec_b32 s1, s0
	s_cbranch_execz .LBB0_19
; %bb.18:
	v_add_nc_u32_e32 v0, 0x1400, v36
	ds_load_b64 v[2:3], v36 offset:1456
	ds_load_b64 v[10:11], v36 offset:3536
	;; [unrolled: 1-line block ×4, first 2 shown]
	ds_load_2addr_b32 v[12:13], v0 offset0:124 offset1:125
	ds_load_b64 v[8:9], v36 offset:11856
	ds_load_b64 v[14:15], v36 offset:13936
.LBB0_19:
	s_wait_alu 0xfffe
	s_or_b32 exec_lo, exec_lo, s1
	v_dual_mov_b32 v1, 0 :: v_dual_add_nc_u32 v0, 0xffffff7e, v26
	v_cmp_gt_u32_e64 s1, 0x82, v26
	s_wait_alu 0xf1ff
	s_delay_alu instid0(VALU_DEP_1) | instskip(NEXT) | instid1(VALU_DEP_1)
	v_cndmask_b32_e64 v27, v0, v26, s1
	v_mul_i32_i24_e32 v0, 6, v27
	s_delay_alu instid0(VALU_DEP_1) | instskip(NEXT) | instid1(VALU_DEP_1)
	v_lshlrev_b64_e32 v[37:38], 3, v[0:1]
	v_add_co_u32 v45, s1, s8, v37
	s_wait_alu 0xf1ff
	s_delay_alu instid0(VALU_DEP_2)
	v_add_co_ci_u32_e64 v46, s1, s9, v38, s1
	v_cmp_lt_u32_e64 s1, 0x81, v26
	s_clause 0x2
	global_load_b128 v[37:40], v[45:46], off offset:960
	global_load_b128 v[41:44], v[45:46], off offset:976
	;; [unrolled: 1-line block ×3, first 2 shown]
	v_lshlrev_b32_e32 v27, 3, v27
	s_wait_alu 0xf1ff
	v_cndmask_b32_e64 v0, 0, 0x1c70, s1
	global_wb scope:SCOPE_SE
	s_wait_loadcnt_dscnt 0x0
	s_barrier_signal -1
	s_barrier_wait -1
	global_inv scope:SCOPE_SE
	v_dual_mul_f32 v50, v38, v35 :: v_dual_mul_f32 v51, v40, v33
	v_mul_f32_e32 v38, v38, v34
	v_add3_u32 v0, 0, v0, v27
	v_dual_mul_f32 v53, v44, v21 :: v_dual_mul_f32 v54, v46, v19
	v_dual_mul_f32 v46, v46, v18 :: v_dual_mul_f32 v55, v48, v31
	s_delay_alu instid0(VALU_DEP_3) | instskip(SKIP_1) | instid1(VALU_DEP_3)
	v_dual_mul_f32 v52, v42, v23 :: v_dual_add_nc_u32 v27, 0x800, v0
	v_dual_mul_f32 v42, v42, v22 :: v_dual_add_nc_u32 v49, 0x1000, v0
	v_dual_mul_f32 v40, v40, v32 :: v_dual_fmac_f32 v55, v47, v30
	v_dual_mul_f32 v48, v48, v30 :: v_dual_fmac_f32 v51, v39, v32
	v_dual_fmac_f32 v50, v37, v34 :: v_dual_fmac_f32 v53, v43, v20
	v_mul_f32_e32 v44, v44, v20
	v_fma_f32 v34, v37, v35, -v38
	s_delay_alu instid0(VALU_DEP_4)
	v_fma_f32 v20, v47, v31, -v48
	v_fmac_f32_e32 v52, v41, v22
	v_fma_f32 v22, v41, v23, -v42
	v_fmac_f32_e32 v54, v45, v18
	v_fma_f32 v18, v45, v19, -v46
	v_add_f32_e32 v19, v50, v55
	v_fma_f32 v21, v43, v21, -v44
	v_fma_f32 v32, v39, v33, -v40
	v_add_f32_e32 v23, v34, v20
	v_sub_f32_e32 v20, v34, v20
	v_sub_f32_e32 v37, v53, v52
	v_add_f32_e32 v35, v22, v21
	v_dual_add_f32 v33, v32, v18 :: v_dual_sub_f32 v30, v50, v55
	v_add_f32_e32 v31, v51, v54
	v_sub_f32_e32 v34, v51, v54
	v_sub_f32_e32 v18, v32, v18
	v_dual_add_f32 v32, v52, v53 :: v_dual_sub_f32 v21, v21, v22
	s_delay_alu instid0(VALU_DEP_3) | instskip(SKIP_2) | instid1(VALU_DEP_4)
	v_dual_add_f32 v22, v31, v19 :: v_dual_add_f32 v41, v37, v34
	v_add_f32_e32 v38, v33, v23
	v_sub_f32_e32 v39, v31, v19
	v_dual_sub_f32 v19, v19, v32 :: v_dual_sub_f32 v40, v33, v23
	v_sub_f32_e32 v33, v35, v33
	v_dual_sub_f32 v23, v23, v35 :: v_dual_add_f32 v42, v21, v18
	v_dual_sub_f32 v31, v32, v31 :: v_dual_sub_f32 v44, v21, v18
	v_dual_sub_f32 v43, v37, v34 :: v_dual_sub_f32 v18, v18, v20
	v_dual_sub_f32 v37, v30, v37 :: v_dual_add_f32 v22, v32, v22
	v_dual_sub_f32 v21, v20, v21 :: v_dual_sub_f32 v34, v34, v30
	v_dual_add_f32 v32, v35, v38 :: v_dual_mul_f32 v19, 0x3f4a47b2, v19
	v_dual_add_f32 v30, v41, v30 :: v_dual_mul_f32 v23, 0x3f4a47b2, v23
	;; [unrolled: 1-line block ×3, first 2 shown]
	v_dual_mul_f32 v41, 0x3f08b237, v43 :: v_dual_mul_f32 v42, 0x3f08b237, v44
	v_dual_mul_f32 v43, 0xbf5ff5aa, v34 :: v_dual_add_f32 v16, v22, v16
	v_dual_mul_f32 v38, 0x3d64c772, v33 :: v_dual_fmamk_f32 v31, v31, 0x3d64c772, v19
	v_dual_mul_f32 v44, 0xbf5ff5aa, v18 :: v_dual_add_f32 v17, v32, v17
	v_fma_f32 v35, 0x3f3bfb3b, v39, -v35
	v_fma_f32 v19, 0xbf3bfb3b, v39, -v19
	v_fmamk_f32 v39, v37, 0xbeae86e6, v41
	v_fma_f32 v34, 0xbf5ff5aa, v34, -v41
	v_fma_f32 v41, 0xbf5ff5aa, v18, -v42
	;; [unrolled: 1-line block ×3, first 2 shown]
	v_fmamk_f32 v18, v22, 0xbf955555, v16
	v_fmamk_f32 v33, v33, 0x3d64c772, v23
	v_fma_f32 v38, 0x3f3bfb3b, v40, -v38
	v_fma_f32 v23, 0xbf3bfb3b, v40, -v23
	v_fmamk_f32 v40, v21, 0xbeae86e6, v42
	v_fma_f32 v42, 0x3eae86e6, v21, -v44
	v_fmamk_f32 v21, v32, 0xbf955555, v17
	v_add_f32_e32 v43, v31, v18
	v_dual_fmac_f32 v34, 0xbee1c552, v30 :: v_dual_fmac_f32 v41, 0xbee1c552, v20
	s_delay_alu instid0(VALU_DEP_4) | instskip(SKIP_3) | instid1(VALU_DEP_3)
	v_dual_fmac_f32 v37, 0xbee1c552, v30 :: v_dual_fmac_f32 v42, 0xbee1c552, v20
	v_add_f32_e32 v32, v19, v18
	v_dual_fmac_f32 v39, 0xbee1c552, v30 :: v_dual_fmac_f32 v40, 0xbee1c552, v20
	v_dual_add_f32 v30, v35, v18 :: v_dual_add_f32 v31, v38, v21
	v_add_f32_e32 v20, v42, v32
	v_sub_f32_e32 v32, v32, v42
	s_delay_alu instid0(VALU_DEP_4) | instskip(NEXT) | instid1(VALU_DEP_4)
	v_add_f32_e32 v18, v40, v43
	v_sub_f32_e32 v22, v30, v41
	v_add_f32_e32 v30, v41, v30
	v_add_f32_e32 v44, v33, v21
	;; [unrolled: 1-line block ×4, first 2 shown]
	v_sub_f32_e32 v31, v31, v34
	s_delay_alu instid0(VALU_DEP_4) | instskip(NEXT) | instid1(VALU_DEP_4)
	v_dual_sub_f32 v34, v43, v40 :: v_dual_sub_f32 v19, v44, v39
	v_sub_f32_e32 v21, v33, v37
	v_add_f32_e32 v33, v37, v33
	v_add_f32_e32 v35, v39, v44
	ds_store_2addr_b64 v0, v[16:17], v[18:19] offset1:130
	ds_store_2addr_b64 v27, v[20:21], v[22:23] offset0:4 offset1:134
	ds_store_2addr_b64 v49, v[30:31], v[32:33] offset0:8 offset1:138
	ds_store_b64 v0, v[34:35] offset:6240
	s_and_saveexec_b32 s1, s0
	s_cbranch_execz .LBB0_21
; %bb.20:
	v_add_nc_u32_e32 v0, 0xb6, v26
	s_delay_alu instid0(VALU_DEP_1) | instskip(NEXT) | instid1(VALU_DEP_1)
	v_and_b32_e32 v16, 0xffff, v0
	v_mul_u32_u24_e32 v16, 0xfc1, v16
	s_delay_alu instid0(VALU_DEP_1) | instskip(NEXT) | instid1(VALU_DEP_1)
	v_lshrrev_b32_e32 v16, 19, v16
	v_mul_lo_u16 v16, 0x82, v16
	s_delay_alu instid0(VALU_DEP_1) | instskip(NEXT) | instid1(VALU_DEP_1)
	v_sub_nc_u16 v0, v0, v16
	v_and_b32_e32 v0, 0xffff, v0
	s_delay_alu instid0(VALU_DEP_1) | instskip(NEXT) | instid1(VALU_DEP_1)
	v_mul_u32_u24_e32 v16, 6, v0
	v_lshlrev_b32_e32 v27, 3, v16
	s_clause 0x2
	global_load_b128 v[16:19], v27, s[8:9] offset:960
	global_load_b128 v[20:23], v27, s[8:9] offset:992
	;; [unrolled: 1-line block ×3, first 2 shown]
	s_wait_loadcnt 0x2
	v_mul_f32_e32 v37, v11, v17
	s_wait_loadcnt 0x0
	v_dual_mul_f32 v38, v15, v23 :: v_dual_mul_f32 v39, v5, v33
	v_mul_f32_e32 v41, v13, v19
	v_lshl_add_u32 v0, v0, 3, 0
	s_delay_alu instid0(VALU_DEP_3) | instskip(SKIP_1) | instid1(VALU_DEP_3)
	v_dual_mul_f32 v33, v4, v33 :: v_dual_fmac_f32 v38, v14, v22
	v_mul_f32_e32 v40, v7, v31
	v_dual_mul_f32 v42, v9, v21 :: v_dual_add_nc_u32 v27, 0x1c00, v0
	s_delay_alu instid0(VALU_DEP_3)
	v_fma_f32 v5, v5, v32, -v33
	v_fmac_f32_e32 v37, v10, v16
	v_dual_mul_f32 v31, v6, v31 :: v_dual_add_nc_u32 v34, 0x2400, v0
	v_mul_f32_e32 v23, v14, v23
	v_add_nc_u32_e32 v35, 0x2c00, v0
	v_dual_mul_f32 v17, v10, v17 :: v_dual_fmac_f32 v42, v8, v20
	v_sub_f32_e32 v10, v37, v38
	v_fma_f32 v7, v7, v30, -v31
	v_dual_mul_f32 v21, v8, v21 :: v_dual_fmac_f32 v40, v6, v30
	s_delay_alu instid0(VALU_DEP_4) | instskip(NEXT) | instid1(VALU_DEP_3)
	v_fma_f32 v6, v11, v16, -v17
	v_dual_add_f32 v14, v7, v5 :: v_dual_fmac_f32 v39, v4, v32
	v_add_f32_e32 v16, v37, v38
	v_fma_f32 v4, v15, v22, -v23
	v_fmac_f32_e32 v41, v12, v18
	v_mul_f32_e32 v19, v12, v19
	v_fma_f32 v8, v9, v20, -v21
	s_delay_alu instid0(VALU_DEP_3) | instskip(NEXT) | instid1(VALU_DEP_3)
	v_sub_f32_e32 v12, v41, v42
	v_fma_f32 v9, v13, v18, -v19
	v_add_f32_e32 v17, v40, v39
	v_add_f32_e32 v13, v6, v4
	v_sub_f32_e32 v4, v6, v4
	v_dual_sub_f32 v11, v39, v40 :: v_dual_add_f32 v18, v41, v42
	v_sub_f32_e32 v5, v5, v7
	v_add_f32_e32 v15, v9, v8
	v_sub_f32_e32 v6, v9, v8
	s_delay_alu instid0(VALU_DEP_4)
	v_sub_f32_e32 v8, v11, v12
	v_dual_add_f32 v9, v11, v12 :: v_dual_sub_f32 v12, v12, v10
	v_sub_f32_e32 v22, v17, v18
	v_dual_sub_f32 v30, v4, v5 :: v_dual_sub_f32 v7, v10, v11
	v_dual_add_f32 v20, v15, v13 :: v_dual_sub_f32 v11, v13, v14
	v_dual_sub_f32 v19, v14, v15 :: v_dual_mul_f32 v8, 0x3f08b237, v8
	s_delay_alu instid0(VALU_DEP_2)
	v_dual_sub_f32 v31, v5, v6 :: v_dual_add_f32 v14, v14, v20
	v_dual_add_f32 v5, v5, v6 :: v_dual_sub_f32 v6, v6, v4
	v_sub_f32_e32 v21, v16, v17
	v_sub_f32_e32 v13, v15, v13
	;; [unrolled: 1-line block ×3, first 2 shown]
	v_dual_add_f32 v9, v9, v10 :: v_dual_mul_f32 v10, 0x3f4a47b2, v11
	s_delay_alu instid0(VALU_DEP_4)
	v_dual_add_f32 v23, v18, v16 :: v_dual_mul_f32 v16, 0x3f4a47b2, v21
	v_mul_f32_e32 v20, 0x3f08b237, v31
	v_dual_mul_f32 v11, 0x3d64c772, v19 :: v_dual_add_f32 v4, v5, v4
	v_mul_f32_e32 v5, 0xbf5ff5aa, v12
	v_mul_f32_e32 v18, 0x3d64c772, v22
	v_dual_add_f32 v3, v3, v14 :: v_dual_fmamk_f32 v22, v22, 0x3d64c772, v16
	v_fmamk_f32 v19, v19, 0x3d64c772, v10
	s_delay_alu instid0(VALU_DEP_4)
	v_fma_f32 v32, 0x3eae86e6, v7, -v5
	v_add_f32_e32 v17, v17, v23
	v_fma_f32 v5, 0xbf3bfb3b, v13, -v10
	v_fma_f32 v10, 0x3f3bfb3b, v13, -v11
	v_fmamk_f32 v11, v14, 0xbf955555, v3
	v_mul_f32_e32 v21, 0xbf5ff5aa, v6
	v_fmac_f32_e32 v32, 0xbee1c552, v9
	v_dual_add_f32 v2, v2, v17 :: v_dual_fmamk_f32 v23, v7, 0xbeae86e6, v8
	s_delay_alu instid0(VALU_DEP_4) | instskip(SKIP_1) | instid1(VALU_DEP_3)
	v_add_f32_e32 v10, v10, v11
	v_fma_f32 v8, 0xbf5ff5aa, v12, -v8
	v_fmamk_f32 v12, v17, 0xbf955555, v2
	v_fma_f32 v7, 0xbf3bfb3b, v15, -v16
	v_fma_f32 v16, 0x3eae86e6, v30, -v21
	v_fmamk_f32 v31, v30, 0xbeae86e6, v20
	v_fma_f32 v20, 0xbf5ff5aa, v6, -v20
	v_fma_f32 v6, 0x3f3bfb3b, v15, -v18
	v_add_f32_e32 v18, v7, v12
	v_dual_fmac_f32 v16, 0xbee1c552, v4 :: v_dual_fmac_f32 v23, 0xbee1c552, v9
	s_delay_alu instid0(VALU_DEP_4) | instskip(SKIP_2) | instid1(VALU_DEP_4)
	v_fmac_f32_e32 v20, 0xbee1c552, v4
	v_dual_fmac_f32 v31, 0xbee1c552, v4 :: v_dual_fmac_f32 v8, 0xbee1c552, v9
	v_dual_add_f32 v4, v19, v11 :: v_dual_add_f32 v17, v22, v12
	v_dual_add_f32 v19, v6, v12 :: v_dual_add_f32 v12, v16, v18
	v_add_f32_e32 v13, v5, v11
	s_delay_alu instid0(VALU_DEP_3) | instskip(SKIP_2) | instid1(VALU_DEP_4)
	v_dual_sub_f32 v15, v4, v23 :: v_dual_add_f32 v14, v31, v17
	v_add_f32_e32 v5, v23, v4
	v_sub_f32_e32 v9, v10, v8
	v_add_f32_e32 v7, v32, v13
	v_add_f32_e32 v11, v8, v10
	v_sub_f32_e32 v13, v13, v32
	v_sub_f32_e32 v4, v17, v31
	v_add_f32_e32 v8, v20, v19
	v_sub_f32_e32 v10, v19, v20
	v_sub_f32_e32 v6, v18, v16
	ds_store_2addr_b64 v27, v[2:3], v[14:15] offset0:14 offset1:144
	ds_store_2addr_b64 v34, v[12:13], v[10:11] offset0:18 offset1:148
	;; [unrolled: 1-line block ×3, first 2 shown]
	ds_store_b64 v0, v[4:5] offset:13520
.LBB0_21:
	s_wait_alu 0xfffe
	s_or_b32 exec_lo, exec_lo, s1
	v_dual_mov_b32 v27, v1 :: v_dual_add_nc_u32 v42, 0x2c00, v36
	global_wb scope:SCOPE_SE
	s_wait_dscnt 0x0
	s_barrier_signal -1
	s_barrier_wait -1
	v_lshlrev_b64_e32 v[0:1], 3, v[26:27]
	global_inv scope:SCOPE_SE
	v_add_co_u32 v2, s0, s8, v0
	s_wait_alu 0xf1ff
	v_add_co_ci_u32_e64 v3, s0, s9, v1, s0
	v_cmp_ne_u32_e64 s0, 0, v26
	s_clause 0x4
	global_load_b64 v[30:31], v[2:3], off offset:7200
	global_load_b64 v[32:33], v[2:3], off offset:8656
	global_load_b64 v[34:35], v[2:3], off offset:10112
	global_load_b64 v[37:38], v[2:3], off offset:11568
	global_load_b64 v[39:40], v[2:3], off offset:13024
	v_add_nc_u32_e32 v27, 0x1600, v36
	v_add_nc_u32_e32 v41, 0x2000, v36
	ds_load_2addr_b64 v[4:7], v27 offset0:24 offset1:206
	ds_load_2addr_b64 v[8:11], v41 offset0:68 offset1:250
	;; [unrolled: 1-line block ×3, first 2 shown]
	s_wait_loadcnt_dscnt 0x402
	v_dual_mul_f32 v44, v31, v7 :: v_dual_add_nc_u32 v43, 0xa00, v36
	v_mul_f32_e32 v31, v31, v6
	s_wait_loadcnt_dscnt 0x301
	v_mul_f32_e32 v45, v33, v9
	s_wait_loadcnt_dscnt 0x0
	v_dual_mul_f32 v33, v33, v8 :: v_dual_mul_f32 v48, v40, v15
	v_fmac_f32_e32 v44, v30, v6
	ds_load_2addr_b64 v[16:19], v36 offset1:182
	ds_load_2addr_b64 v[20:23], v43 offset0:44 offset1:226
	v_mul_f32_e32 v46, v35, v11
	v_mul_f32_e32 v35, v35, v10
	v_dual_mul_f32 v47, v38, v13 :: v_dual_fmac_f32 v48, v39, v14
	v_mul_f32_e32 v38, v38, v12
	v_mul_f32_e32 v40, v40, v14
	v_fma_f32 v7, v30, v7, -v31
	v_dual_fmac_f32 v45, v32, v8 :: v_dual_fmac_f32 v46, v34, v10
	v_fma_f32 v9, v32, v9, -v33
	v_fmac_f32_e32 v47, v37, v12
	v_fma_f32 v13, v37, v13, -v38
	v_fma_f32 v15, v39, v15, -v40
	global_wb scope:SCOPE_SE
	s_wait_dscnt 0x0
	s_barrier_signal -1
	s_barrier_wait -1
	global_inv scope:SCOPE_SE
	v_dual_sub_f32 v15, v5, v15 :: v_dual_sub_f32 v8, v18, v45
	v_sub_f32_e32 v6, v16, v44
	v_fma_f32 v11, v34, v11, -v35
	v_dual_sub_f32 v7, v17, v7 :: v_dual_sub_f32 v10, v20, v46
	v_dual_sub_f32 v9, v19, v9 :: v_dual_sub_f32 v12, v22, v47
	s_delay_alu instid0(VALU_DEP_3)
	v_dual_sub_f32 v11, v21, v11 :: v_dual_sub_f32 v14, v4, v48
	v_sub_f32_e32 v13, v23, v13
	v_fma_f32 v16, v16, 2.0, -v6
	v_fma_f32 v17, v17, 2.0, -v7
	;; [unrolled: 1-line block ×10, first 2 shown]
	ds_store_2addr_b64 v41, v[8:9], v[10:11] offset0:68 offset1:250
	ds_store_2addr_b64 v42, v[12:13], v[14:15] offset0:48 offset1:230
	ds_store_2addr_b64 v36, v[16:17], v[18:19] offset1:182
	ds_store_2addr_b64 v43, v[20:21], v[22:23] offset0:44 offset1:226
	ds_store_2addr_b64 v27, v[4:5], v[6:7] offset0:24 offset1:206
	v_lshlrev_b32_e32 v4, 3, v26
	global_wb scope:SCOPE_SE
	s_wait_dscnt 0x0
	s_barrier_signal -1
	s_barrier_wait -1
	global_inv scope:SCOPE_SE
	ds_load_b64 v[6:7], v36
	v_sub_nc_u32_e32 v8, 0, v4
                                        ; implicit-def: $vgpr4
                                        ; implicit-def: $vgpr9
                                        ; implicit-def: $vgpr10
	s_and_saveexec_b32 s1, s0
	s_wait_alu 0xfffe
	s_xor_b32 s0, exec_lo, s1
	s_cbranch_execz .LBB0_23
; %bb.22:
	global_load_b64 v[2:3], v[2:3], off offset:14480
	ds_load_b64 v[4:5], v8 offset:14560
	s_wait_dscnt 0x0
	v_dual_sub_f32 v9, v6, v4 :: v_dual_add_f32 v10, v5, v7
	v_dual_sub_f32 v5, v7, v5 :: v_dual_add_f32 v4, v4, v6
	s_delay_alu instid0(VALU_DEP_2) | instskip(SKIP_1) | instid1(VALU_DEP_1)
	v_dual_mul_f32 v7, 0.5, v9 :: v_dual_mul_f32 v6, 0.5, v10
	s_wait_loadcnt 0x0
	v_dual_mul_f32 v5, 0.5, v5 :: v_dual_mul_f32 v10, v3, v7
	s_delay_alu instid0(VALU_DEP_1) | instskip(SKIP_1) | instid1(VALU_DEP_3)
	v_fma_f32 v11, v6, v3, v5
	v_fma_f32 v3, v6, v3, -v5
	v_fma_f32 v9, 0.5, v4, v10
	v_fma_f32 v4, v4, 0.5, -v10
	s_delay_alu instid0(VALU_DEP_4) | instskip(NEXT) | instid1(VALU_DEP_4)
	v_fma_f32 v10, -v2, v7, v11
	v_fma_f32 v5, -v2, v7, v3
	s_delay_alu instid0(VALU_DEP_4) | instskip(NEXT) | instid1(VALU_DEP_4)
	v_fmac_f32_e32 v9, v2, v6
	v_fma_f32 v4, -v2, v6, v4
                                        ; implicit-def: $vgpr6_vgpr7
.LBB0_23:
	s_wait_alu 0xfffe
	s_and_not1_saveexec_b32 s0, s0
	s_cbranch_execz .LBB0_25
; %bb.24:
	s_wait_dscnt 0x0
	v_dual_mov_b32 v10, 0 :: v_dual_add_f32 v9, v6, v7
	v_dual_sub_f32 v4, v6, v7 :: v_dual_mov_b32 v5, 0
	ds_load_b32 v2, v10 offset:7284
	s_wait_dscnt 0x0
	v_xor_b32_e32 v2, 0x80000000, v2
	ds_store_b32 v10, v2 offset:7284
.LBB0_25:
	s_wait_alu 0xfffe
	s_or_b32 exec_lo, exec_lo, s0
	s_add_nc_u64 s[0:1], s[8:9], 0x3890
	s_wait_alu 0xfffe
	v_add_co_u32 v0, s0, s0, v0
	s_wait_alu 0xf1ff
	v_add_co_ci_u32_e64 v1, s0, s1, v1, s0
	global_load_b64 v[2:3], v[0:1], off offset:1456
	s_wait_dscnt 0x0
	s_clause 0x2
	global_load_b64 v[6:7], v[0:1], off offset:2912
	global_load_b64 v[11:12], v[0:1], off offset:4368
	;; [unrolled: 1-line block ×3, first 2 shown]
	ds_store_2addr_b32 v36, v9, v10 offset1:1
	ds_store_b64 v8, v[4:5] offset:14560
	ds_load_b64 v[4:5], v36 offset:1456
	ds_load_b64 v[9:10], v8 offset:13104
	s_wait_dscnt 0x0
	v_dual_sub_f32 v13, v4, v9 :: v_dual_add_f32 v14, v5, v10
	v_dual_sub_f32 v5, v5, v10 :: v_dual_add_f32 v4, v4, v9
	s_delay_alu instid0(VALU_DEP_2) | instskip(NEXT) | instid1(VALU_DEP_2)
	v_dual_mul_f32 v10, 0.5, v13 :: v_dual_mul_f32 v13, 0.5, v14
	v_mul_f32_e32 v5, 0.5, v5
	s_wait_loadcnt 0x3
	s_delay_alu instid0(VALU_DEP_2) | instskip(NEXT) | instid1(VALU_DEP_2)
	v_mul_f32_e32 v9, v3, v10
	v_fma_f32 v14, v13, v3, v5
	v_fma_f32 v3, v13, v3, -v5
	s_delay_alu instid0(VALU_DEP_3)
	v_fma_f32 v5, 0.5, v4, v9
	v_fma_f32 v4, v4, 0.5, -v9
	v_add_nc_u32_e32 v9, 0x400, v36
	v_fma_f32 v14, -v2, v10, v14
	v_fma_f32 v3, -v2, v10, v3
	v_fmac_f32_e32 v5, v2, v13
	v_fma_f32 v2, -v2, v13, v4
	ds_store_2addr_b32 v9, v5, v14 offset0:108 offset1:109
	ds_store_b64 v8, v[2:3] offset:13104
	ds_load_b64 v[2:3], v36 offset:2912
	ds_load_b64 v[4:5], v8 offset:11648
	s_wait_dscnt 0x0
	v_dual_sub_f32 v9, v2, v4 :: v_dual_add_f32 v10, v3, v5
	v_dual_sub_f32 v3, v3, v5 :: v_dual_add_f32 v2, v2, v4
	s_delay_alu instid0(VALU_DEP_2) | instskip(NEXT) | instid1(VALU_DEP_3)
	v_mul_f32_e32 v5, 0.5, v9
	v_mul_f32_e32 v9, 0.5, v10
	s_wait_loadcnt 0x2
	s_delay_alu instid0(VALU_DEP_2) | instskip(NEXT) | instid1(VALU_DEP_1)
	v_dual_mul_f32 v3, 0.5, v3 :: v_dual_mul_f32 v4, v7, v5
	v_fma_f32 v10, v9, v7, v3
	v_fma_f32 v3, v9, v7, -v3
	s_delay_alu instid0(VALU_DEP_3)
	v_fma_f32 v7, 0.5, v2, v4
	v_fma_f32 v2, v2, 0.5, -v4
	v_add_nc_u32_e32 v4, 0x800, v36
	v_fma_f32 v10, -v6, v5, v10
	v_fma_f32 v3, -v6, v5, v3
	v_fmac_f32_e32 v7, v6, v9
	v_fma_f32 v2, -v6, v9, v2
	ds_store_2addr_b32 v4, v7, v10 offset0:216 offset1:217
	ds_store_b64 v8, v[2:3] offset:11648
	ds_load_b64 v[2:3], v36 offset:4368
	ds_load_b64 v[4:5], v8 offset:10192
	s_wait_dscnt 0x0
	v_dual_sub_f32 v6, v2, v4 :: v_dual_add_f32 v7, v3, v5
	v_dual_sub_f32 v3, v3, v5 :: v_dual_add_f32 v2, v2, v4
	s_delay_alu instid0(VALU_DEP_2) | instskip(SKIP_1) | instid1(VALU_DEP_1)
	v_dual_mul_f32 v5, 0.5, v6 :: v_dual_mul_f32 v6, 0.5, v7
	s_wait_loadcnt 0x1
	v_dual_mul_f32 v3, 0.5, v3 :: v_dual_mul_f32 v4, v12, v5
	s_delay_alu instid0(VALU_DEP_1) | instskip(SKIP_1) | instid1(VALU_DEP_3)
	v_fma_f32 v7, v6, v12, v3
	v_fma_f32 v3, v6, v12, -v3
	v_fma_f32 v9, 0.5, v2, v4
	v_fma_f32 v2, v2, 0.5, -v4
	v_add_nc_u32_e32 v4, 0x1000, v36
	v_fma_f32 v7, -v11, v5, v7
	v_fma_f32 v3, -v11, v5, v3
	v_fmac_f32_e32 v9, v11, v6
	v_fma_f32 v2, -v11, v6, v2
	ds_store_2addr_b32 v4, v9, v7 offset0:68 offset1:69
	ds_store_b64 v8, v[2:3] offset:10192
	ds_load_b64 v[2:3], v36 offset:5824
	ds_load_b64 v[4:5], v8 offset:8736
	s_wait_dscnt 0x0
	v_dual_sub_f32 v6, v2, v4 :: v_dual_add_f32 v7, v3, v5
	v_dual_sub_f32 v3, v3, v5 :: v_dual_add_f32 v2, v2, v4
	s_delay_alu instid0(VALU_DEP_2) | instskip(SKIP_1) | instid1(VALU_DEP_1)
	v_dual_mul_f32 v5, 0.5, v6 :: v_dual_mul_f32 v6, 0.5, v7
	s_wait_loadcnt 0x0
	v_dual_mul_f32 v3, 0.5, v3 :: v_dual_mul_f32 v4, v1, v5
	s_delay_alu instid0(VALU_DEP_1) | instskip(SKIP_1) | instid1(VALU_DEP_3)
	v_fma_f32 v7, v6, v1, v3
	v_fma_f32 v1, v6, v1, -v3
	v_fma_f32 v3, 0.5, v2, v4
	v_fma_f32 v2, v2, 0.5, -v4
	v_add_nc_u32_e32 v4, 0x1400, v36
	v_fma_f32 v7, -v0, v5, v7
	v_fma_f32 v1, -v0, v5, v1
	v_fmac_f32_e32 v3, v0, v6
	v_fma_f32 v0, -v0, v6, v2
	ds_store_2addr_b32 v4, v3, v7 offset0:176 offset1:177
	ds_store_b64 v8, v[0:1] offset:8736
	global_wb scope:SCOPE_SE
	s_wait_dscnt 0x0
	s_barrier_signal -1
	s_barrier_wait -1
	global_inv scope:SCOPE_SE
	s_and_saveexec_b32 s0, vcc_lo
	s_cbranch_execz .LBB0_28
; %bb.26:
	v_mul_lo_u32 v2, s3, v28
	v_mul_lo_u32 v3, s2, v29
	v_mad_co_u64_u32 v[0:1], null, s2, v28, 0
	v_dual_mov_b32 v27, 0 :: v_dual_add_nc_u32 v8, 0xb6, v26
	v_lshl_add_u32 v22, v26, 3, 0
	v_lshlrev_b64_e32 v[6:7], 3, v[24:25]
	s_delay_alu instid0(VALU_DEP_3) | instskip(SKIP_1) | instid1(VALU_DEP_4)
	v_dual_mov_b32 v9, v27 :: v_dual_add_nc_u32 v10, 0x16c, v26
	v_add3_u32 v1, v1, v3, v2
	v_dual_mov_b32 v11, v27 :: v_dual_add_nc_u32 v16, 0xa00, v22
	ds_load_2addr_b64 v[2:5], v22 offset1:182
	v_lshlrev_b64_e32 v[12:13], 3, v[26:27]
	v_lshlrev_b64_e32 v[0:1], 3, v[0:1]
	;; [unrolled: 1-line block ×4, first 2 shown]
	v_dual_mov_b32 v19, v27 :: v_dual_add_nc_u32 v18, 0x2d8, v26
	v_dual_mov_b32 v21, v27 :: v_dual_add_nc_u32 v20, 0x38e, v26
	v_add_co_u32 v0, vcc_lo, s6, v0
	s_wait_alu 0xfffd
	v_add_co_ci_u32_e32 v1, vcc_lo, s7, v1, vcc_lo
	v_mov_b32_e32 v17, v27
	s_delay_alu instid0(VALU_DEP_3) | instskip(SKIP_1) | instid1(VALU_DEP_3)
	v_add_co_u32 v0, vcc_lo, v0, v6
	s_wait_alu 0xfffd
	v_add_co_ci_u32_e32 v1, vcc_lo, v1, v7, vcc_lo
	ds_load_2addr_b64 v[6:9], v16 offset0:44 offset1:226
	v_add_nc_u32_e32 v16, 0x222, v26
	v_add_co_u32 v12, vcc_lo, v0, v12
	s_wait_alu 0xfffd
	v_add_co_ci_u32_e32 v13, vcc_lo, v1, v13, vcc_lo
	v_add_co_u32 v14, vcc_lo, v0, v14
	v_lshlrev_b64_e32 v[16:17], 3, v[16:17]
	s_wait_alu 0xfffd
	v_add_co_ci_u32_e32 v15, vcc_lo, v1, v15, vcc_lo
	v_add_co_u32 v10, vcc_lo, v0, v10
	s_wait_alu 0xfffd
	v_add_co_ci_u32_e32 v11, vcc_lo, v1, v11, vcc_lo
	v_add_co_u32 v16, vcc_lo, v0, v16
	s_wait_alu 0xfffd
	v_add_co_ci_u32_e32 v17, vcc_lo, v1, v17, vcc_lo
	v_lshlrev_b64_e32 v[18:19], 3, v[18:19]
	s_wait_dscnt 0x1
	s_clause 0x1
	global_store_b64 v[12:13], v[2:3], off
	global_store_b64 v[14:15], v[4:5], off
	s_wait_dscnt 0x0
	s_clause 0x1
	global_store_b64 v[10:11], v[6:7], off
	global_store_b64 v[16:17], v[8:9], off
	v_dual_mov_b32 v11, v27 :: v_dual_add_nc_u32 v10, 0x444, v26
	v_lshlrev_b64_e32 v[6:7], 3, v[20:21]
	v_add_nc_u32_e32 v23, 0x1600, v22
	v_add_co_u32 v14, vcc_lo, v0, v18
	s_delay_alu instid0(VALU_DEP_4)
	v_lshlrev_b64_e32 v[10:11], 3, v[10:11]
	s_wait_alu 0xfffd
	v_add_co_ci_u32_e32 v15, vcc_lo, v1, v19, vcc_lo
	v_dual_mov_b32 v13, v27 :: v_dual_add_nc_u32 v8, 0x2000, v22
	v_dual_mov_b32 v19, v27 :: v_dual_add_nc_u32 v12, 0x4fa, v26
	v_add_co_u32 v16, vcc_lo, v0, v6
	v_add_nc_u32_e32 v24, 0x2c00, v22
	s_wait_alu 0xfffd
	v_add_co_ci_u32_e32 v17, vcc_lo, v1, v7, vcc_lo
	v_dual_mov_b32 v25, v27 :: v_dual_add_nc_u32 v18, 0x5b0, v26
	v_add_co_u32 v20, vcc_lo, v0, v10
	ds_load_2addr_b64 v[2:5], v23 offset0:24 offset1:206
	v_lshlrev_b64_e32 v[22:23], 3, v[12:13]
	s_wait_alu 0xfffd
	v_add_co_ci_u32_e32 v21, vcc_lo, v1, v11, vcc_lo
	ds_load_2addr_b64 v[10:13], v24 offset0:48 offset1:230
	v_add_nc_u32_e32 v24, 0x666, v26
	ds_load_2addr_b64 v[6:9], v8 offset0:68 offset1:250
	v_lshlrev_b64_e32 v[18:19], 3, v[18:19]
	v_add_co_u32 v22, vcc_lo, v0, v22
	v_lshlrev_b64_e32 v[24:25], 3, v[24:25]
	s_wait_alu 0xfffd
	v_add_co_ci_u32_e32 v23, vcc_lo, v1, v23, vcc_lo
	s_delay_alu instid0(VALU_DEP_4)
	v_add_co_u32 v18, vcc_lo, v0, v18
	s_wait_alu 0xfffd
	v_add_co_ci_u32_e32 v19, vcc_lo, v1, v19, vcc_lo
	v_add_co_u32 v24, vcc_lo, v0, v24
	s_wait_alu 0xfffd
	v_add_co_ci_u32_e32 v25, vcc_lo, v1, v25, vcc_lo
	v_cmp_eq_u32_e32 vcc_lo, 0xb5, v26
	s_wait_dscnt 0x2
	s_clause 0x1
	global_store_b64 v[14:15], v[2:3], off
	global_store_b64 v[16:17], v[4:5], off
	s_wait_dscnt 0x0
	s_clause 0x3
	global_store_b64 v[20:21], v[6:7], off
	global_store_b64 v[22:23], v[8:9], off
	;; [unrolled: 1-line block ×4, first 2 shown]
	s_and_b32 exec_lo, exec_lo, vcc_lo
	s_cbranch_execz .LBB0_28
; %bb.27:
	ds_load_b64 v[2:3], v27 offset:14560
	s_wait_dscnt 0x0
	global_store_b64 v[0:1], v[2:3], off offset:14560
.LBB0_28:
	s_nop 0
	s_sendmsg sendmsg(MSG_DEALLOC_VGPRS)
	s_endpgm
	.section	.rodata,"a",@progbits
	.p2align	6, 0x0
	.amdhsa_kernel fft_rtc_back_len1820_factors_10_13_7_2_wgs_182_tpt_182_halfLds_sp_op_CI_CI_unitstride_sbrr_R2C_dirReg
		.amdhsa_group_segment_fixed_size 0
		.amdhsa_private_segment_fixed_size 0
		.amdhsa_kernarg_size 104
		.amdhsa_user_sgpr_count 2
		.amdhsa_user_sgpr_dispatch_ptr 0
		.amdhsa_user_sgpr_queue_ptr 0
		.amdhsa_user_sgpr_kernarg_segment_ptr 1
		.amdhsa_user_sgpr_dispatch_id 0
		.amdhsa_user_sgpr_private_segment_size 0
		.amdhsa_wavefront_size32 1
		.amdhsa_uses_dynamic_stack 0
		.amdhsa_enable_private_segment 0
		.amdhsa_system_sgpr_workgroup_id_x 1
		.amdhsa_system_sgpr_workgroup_id_y 0
		.amdhsa_system_sgpr_workgroup_id_z 0
		.amdhsa_system_sgpr_workgroup_info 0
		.amdhsa_system_vgpr_workitem_id 0
		.amdhsa_next_free_vgpr 146
		.amdhsa_next_free_sgpr 39
		.amdhsa_reserve_vcc 1
		.amdhsa_float_round_mode_32 0
		.amdhsa_float_round_mode_16_64 0
		.amdhsa_float_denorm_mode_32 3
		.amdhsa_float_denorm_mode_16_64 3
		.amdhsa_fp16_overflow 0
		.amdhsa_workgroup_processor_mode 1
		.amdhsa_memory_ordered 1
		.amdhsa_forward_progress 0
		.amdhsa_round_robin_scheduling 0
		.amdhsa_exception_fp_ieee_invalid_op 0
		.amdhsa_exception_fp_denorm_src 0
		.amdhsa_exception_fp_ieee_div_zero 0
		.amdhsa_exception_fp_ieee_overflow 0
		.amdhsa_exception_fp_ieee_underflow 0
		.amdhsa_exception_fp_ieee_inexact 0
		.amdhsa_exception_int_div_zero 0
	.end_amdhsa_kernel
	.text
.Lfunc_end0:
	.size	fft_rtc_back_len1820_factors_10_13_7_2_wgs_182_tpt_182_halfLds_sp_op_CI_CI_unitstride_sbrr_R2C_dirReg, .Lfunc_end0-fft_rtc_back_len1820_factors_10_13_7_2_wgs_182_tpt_182_halfLds_sp_op_CI_CI_unitstride_sbrr_R2C_dirReg
                                        ; -- End function
	.section	.AMDGPU.csdata,"",@progbits
; Kernel info:
; codeLenInByte = 10812
; NumSgprs: 41
; NumVgprs: 146
; ScratchSize: 0
; MemoryBound: 0
; FloatMode: 240
; IeeeMode: 1
; LDSByteSize: 0 bytes/workgroup (compile time only)
; SGPRBlocks: 5
; VGPRBlocks: 18
; NumSGPRsForWavesPerEU: 41
; NumVGPRsForWavesPerEU: 146
; Occupancy: 9
; WaveLimiterHint : 1
; COMPUTE_PGM_RSRC2:SCRATCH_EN: 0
; COMPUTE_PGM_RSRC2:USER_SGPR: 2
; COMPUTE_PGM_RSRC2:TRAP_HANDLER: 0
; COMPUTE_PGM_RSRC2:TGID_X_EN: 1
; COMPUTE_PGM_RSRC2:TGID_Y_EN: 0
; COMPUTE_PGM_RSRC2:TGID_Z_EN: 0
; COMPUTE_PGM_RSRC2:TIDIG_COMP_CNT: 0
	.text
	.p2alignl 7, 3214868480
	.fill 96, 4, 3214868480
	.type	__hip_cuid_5da7bfdd306b6597,@object ; @__hip_cuid_5da7bfdd306b6597
	.section	.bss,"aw",@nobits
	.globl	__hip_cuid_5da7bfdd306b6597
__hip_cuid_5da7bfdd306b6597:
	.byte	0                               ; 0x0
	.size	__hip_cuid_5da7bfdd306b6597, 1

	.ident	"AMD clang version 19.0.0git (https://github.com/RadeonOpenCompute/llvm-project roc-6.4.0 25133 c7fe45cf4b819c5991fe208aaa96edf142730f1d)"
	.section	".note.GNU-stack","",@progbits
	.addrsig
	.addrsig_sym __hip_cuid_5da7bfdd306b6597
	.amdgpu_metadata
---
amdhsa.kernels:
  - .args:
      - .actual_access:  read_only
        .address_space:  global
        .offset:         0
        .size:           8
        .value_kind:     global_buffer
      - .offset:         8
        .size:           8
        .value_kind:     by_value
      - .actual_access:  read_only
        .address_space:  global
        .offset:         16
        .size:           8
        .value_kind:     global_buffer
      - .actual_access:  read_only
        .address_space:  global
        .offset:         24
        .size:           8
        .value_kind:     global_buffer
      - .actual_access:  read_only
        .address_space:  global
        .offset:         32
        .size:           8
        .value_kind:     global_buffer
      - .offset:         40
        .size:           8
        .value_kind:     by_value
      - .actual_access:  read_only
        .address_space:  global
        .offset:         48
        .size:           8
        .value_kind:     global_buffer
      - .actual_access:  read_only
        .address_space:  global
        .offset:         56
        .size:           8
        .value_kind:     global_buffer
      - .offset:         64
        .size:           4
        .value_kind:     by_value
      - .actual_access:  read_only
        .address_space:  global
        .offset:         72
        .size:           8
        .value_kind:     global_buffer
      - .actual_access:  read_only
        .address_space:  global
        .offset:         80
        .size:           8
        .value_kind:     global_buffer
      - .actual_access:  read_only
        .address_space:  global
        .offset:         88
        .size:           8
        .value_kind:     global_buffer
      - .actual_access:  write_only
        .address_space:  global
        .offset:         96
        .size:           8
        .value_kind:     global_buffer
    .group_segment_fixed_size: 0
    .kernarg_segment_align: 8
    .kernarg_segment_size: 104
    .language:       OpenCL C
    .language_version:
      - 2
      - 0
    .max_flat_workgroup_size: 182
    .name:           fft_rtc_back_len1820_factors_10_13_7_2_wgs_182_tpt_182_halfLds_sp_op_CI_CI_unitstride_sbrr_R2C_dirReg
    .private_segment_fixed_size: 0
    .sgpr_count:     41
    .sgpr_spill_count: 0
    .symbol:         fft_rtc_back_len1820_factors_10_13_7_2_wgs_182_tpt_182_halfLds_sp_op_CI_CI_unitstride_sbrr_R2C_dirReg.kd
    .uniform_work_group_size: 1
    .uses_dynamic_stack: false
    .vgpr_count:     146
    .vgpr_spill_count: 0
    .wavefront_size: 32
    .workgroup_processor_mode: 1
amdhsa.target:   amdgcn-amd-amdhsa--gfx1201
amdhsa.version:
  - 1
  - 2
...

	.end_amdgpu_metadata
